;; amdgpu-corpus repo=ROCm/rocFFT kind=compiled arch=gfx906 opt=O3
	.text
	.amdgcn_target "amdgcn-amd-amdhsa--gfx906"
	.amdhsa_code_object_version 6
	.protected	fft_rtc_back_len1014_factors_13_6_13_wgs_156_tpt_78_dp_ip_CI_sbrr_dirReg ; -- Begin function fft_rtc_back_len1014_factors_13_6_13_wgs_156_tpt_78_dp_ip_CI_sbrr_dirReg
	.globl	fft_rtc_back_len1014_factors_13_6_13_wgs_156_tpt_78_dp_ip_CI_sbrr_dirReg
	.p2align	8
	.type	fft_rtc_back_len1014_factors_13_6_13_wgs_156_tpt_78_dp_ip_CI_sbrr_dirReg,@function
fft_rtc_back_len1014_factors_13_6_13_wgs_156_tpt_78_dp_ip_CI_sbrr_dirReg: ; @fft_rtc_back_len1014_factors_13_6_13_wgs_156_tpt_78_dp_ip_CI_sbrr_dirReg
; %bb.0:
	s_load_dwordx2 s[14:15], s[4:5], 0x18
	s_load_dwordx4 s[8:11], s[4:5], 0x0
	s_load_dwordx2 s[12:13], s[4:5], 0x50
	v_mul_u32_u24_e32 v1, 0x349, v0
	v_lshrrev_b32_e32 v85, 16, v1
	s_waitcnt lgkmcnt(0)
	s_load_dwordx2 s[2:3], s[14:15], 0x0
	v_cmp_lt_u64_e64 s[0:1], s[10:11], 2
	v_mov_b32_e32 v3, 0
	v_mov_b32_e32 v1, 0
	v_lshl_add_u32 v5, s6, 1, v85
	v_mov_b32_e32 v6, v3
	s_and_b64 vcc, exec, s[0:1]
	v_mov_b32_e32 v2, 0
	s_cbranch_vccnz .LBB0_8
; %bb.1:
	s_load_dwordx2 s[0:1], s[4:5], 0x10
	s_add_u32 s6, s14, 8
	s_addc_u32 s7, s15, 0
	v_mov_b32_e32 v1, 0
	v_mov_b32_e32 v2, 0
	s_waitcnt lgkmcnt(0)
	s_add_u32 s16, s0, 8
	s_addc_u32 s17, s1, 0
	s_mov_b64 s[18:19], 1
.LBB0_2:                                ; =>This Inner Loop Header: Depth=1
	s_load_dwordx2 s[20:21], s[16:17], 0x0
                                        ; implicit-def: $vgpr7_vgpr8
	s_waitcnt lgkmcnt(0)
	v_or_b32_e32 v4, s21, v6
	v_cmp_ne_u64_e32 vcc, 0, v[3:4]
	s_and_saveexec_b64 s[0:1], vcc
	s_xor_b64 s[22:23], exec, s[0:1]
	s_cbranch_execz .LBB0_4
; %bb.3:                                ;   in Loop: Header=BB0_2 Depth=1
	v_cvt_f32_u32_e32 v4, s20
	v_cvt_f32_u32_e32 v7, s21
	s_sub_u32 s0, 0, s20
	s_subb_u32 s1, 0, s21
	v_mac_f32_e32 v4, 0x4f800000, v7
	v_rcp_f32_e32 v4, v4
	v_mul_f32_e32 v4, 0x5f7ffffc, v4
	v_mul_f32_e32 v7, 0x2f800000, v4
	v_trunc_f32_e32 v7, v7
	v_mac_f32_e32 v4, 0xcf800000, v7
	v_cvt_u32_f32_e32 v7, v7
	v_cvt_u32_f32_e32 v4, v4
	v_mul_lo_u32 v8, s0, v7
	v_mul_hi_u32 v9, s0, v4
	v_mul_lo_u32 v11, s1, v4
	v_mul_lo_u32 v10, s0, v4
	v_add_u32_e32 v8, v9, v8
	v_add_u32_e32 v8, v8, v11
	v_mul_hi_u32 v9, v4, v10
	v_mul_lo_u32 v11, v4, v8
	v_mul_hi_u32 v13, v4, v8
	v_mul_hi_u32 v12, v7, v10
	v_mul_lo_u32 v10, v7, v10
	v_mul_hi_u32 v14, v7, v8
	v_add_co_u32_e32 v9, vcc, v9, v11
	v_addc_co_u32_e32 v11, vcc, 0, v13, vcc
	v_mul_lo_u32 v8, v7, v8
	v_add_co_u32_e32 v9, vcc, v9, v10
	v_addc_co_u32_e32 v9, vcc, v11, v12, vcc
	v_addc_co_u32_e32 v10, vcc, 0, v14, vcc
	v_add_co_u32_e32 v8, vcc, v9, v8
	v_addc_co_u32_e32 v9, vcc, 0, v10, vcc
	v_add_co_u32_e32 v4, vcc, v4, v8
	v_addc_co_u32_e32 v7, vcc, v7, v9, vcc
	v_mul_lo_u32 v8, s0, v7
	v_mul_hi_u32 v9, s0, v4
	v_mul_lo_u32 v10, s1, v4
	v_mul_lo_u32 v11, s0, v4
	v_add_u32_e32 v8, v9, v8
	v_add_u32_e32 v8, v8, v10
	v_mul_lo_u32 v12, v4, v8
	v_mul_hi_u32 v13, v4, v11
	v_mul_hi_u32 v14, v4, v8
	v_mul_hi_u32 v10, v7, v11
	v_mul_lo_u32 v11, v7, v11
	v_mul_hi_u32 v9, v7, v8
	v_add_co_u32_e32 v12, vcc, v13, v12
	v_addc_co_u32_e32 v13, vcc, 0, v14, vcc
	v_mul_lo_u32 v8, v7, v8
	v_add_co_u32_e32 v11, vcc, v12, v11
	v_addc_co_u32_e32 v10, vcc, v13, v10, vcc
	v_addc_co_u32_e32 v9, vcc, 0, v9, vcc
	v_add_co_u32_e32 v8, vcc, v10, v8
	v_addc_co_u32_e32 v9, vcc, 0, v9, vcc
	v_add_co_u32_e32 v4, vcc, v4, v8
	v_addc_co_u32_e32 v9, vcc, v7, v9, vcc
	v_mad_u64_u32 v[7:8], s[0:1], v5, v9, 0
	v_mul_hi_u32 v10, v5, v4
	v_add_co_u32_e32 v11, vcc, v10, v7
	v_addc_co_u32_e32 v12, vcc, 0, v8, vcc
	v_mad_u64_u32 v[7:8], s[0:1], v6, v4, 0
	v_mad_u64_u32 v[9:10], s[0:1], v6, v9, 0
	v_add_co_u32_e32 v4, vcc, v11, v7
	v_addc_co_u32_e32 v4, vcc, v12, v8, vcc
	v_addc_co_u32_e32 v7, vcc, 0, v10, vcc
	v_add_co_u32_e32 v4, vcc, v4, v9
	v_addc_co_u32_e32 v9, vcc, 0, v7, vcc
	v_mul_lo_u32 v10, s21, v4
	v_mul_lo_u32 v11, s20, v9
	v_mad_u64_u32 v[7:8], s[0:1], s20, v4, 0
	v_add3_u32 v8, v8, v11, v10
	v_sub_u32_e32 v10, v6, v8
	v_mov_b32_e32 v11, s21
	v_sub_co_u32_e32 v7, vcc, v5, v7
	v_subb_co_u32_e64 v10, s[0:1], v10, v11, vcc
	v_subrev_co_u32_e64 v11, s[0:1], s20, v7
	v_subbrev_co_u32_e64 v10, s[0:1], 0, v10, s[0:1]
	v_cmp_le_u32_e64 s[0:1], s21, v10
	v_cndmask_b32_e64 v12, 0, -1, s[0:1]
	v_cmp_le_u32_e64 s[0:1], s20, v11
	v_cndmask_b32_e64 v11, 0, -1, s[0:1]
	v_cmp_eq_u32_e64 s[0:1], s21, v10
	v_cndmask_b32_e64 v10, v12, v11, s[0:1]
	v_add_co_u32_e64 v11, s[0:1], 2, v4
	v_addc_co_u32_e64 v12, s[0:1], 0, v9, s[0:1]
	v_add_co_u32_e64 v13, s[0:1], 1, v4
	v_addc_co_u32_e64 v14, s[0:1], 0, v9, s[0:1]
	v_subb_co_u32_e32 v8, vcc, v6, v8, vcc
	v_cmp_ne_u32_e64 s[0:1], 0, v10
	v_cmp_le_u32_e32 vcc, s21, v8
	v_cndmask_b32_e64 v10, v14, v12, s[0:1]
	v_cndmask_b32_e64 v12, 0, -1, vcc
	v_cmp_le_u32_e32 vcc, s20, v7
	v_cndmask_b32_e64 v7, 0, -1, vcc
	v_cmp_eq_u32_e32 vcc, s21, v8
	v_cndmask_b32_e32 v7, v12, v7, vcc
	v_cmp_ne_u32_e32 vcc, 0, v7
	v_cndmask_b32_e64 v7, v13, v11, s[0:1]
	v_cndmask_b32_e32 v8, v9, v10, vcc
	v_cndmask_b32_e32 v7, v4, v7, vcc
.LBB0_4:                                ;   in Loop: Header=BB0_2 Depth=1
	s_andn2_saveexec_b64 s[0:1], s[22:23]
	s_cbranch_execz .LBB0_6
; %bb.5:                                ;   in Loop: Header=BB0_2 Depth=1
	v_cvt_f32_u32_e32 v4, s20
	s_sub_i32 s22, 0, s20
	v_rcp_iflag_f32_e32 v4, v4
	v_mul_f32_e32 v4, 0x4f7ffffe, v4
	v_cvt_u32_f32_e32 v4, v4
	v_mul_lo_u32 v7, s22, v4
	v_mul_hi_u32 v7, v4, v7
	v_add_u32_e32 v4, v4, v7
	v_mul_hi_u32 v4, v5, v4
	v_mul_lo_u32 v7, v4, s20
	v_add_u32_e32 v8, 1, v4
	v_sub_u32_e32 v7, v5, v7
	v_subrev_u32_e32 v9, s20, v7
	v_cmp_le_u32_e32 vcc, s20, v7
	v_cndmask_b32_e32 v7, v7, v9, vcc
	v_cndmask_b32_e32 v4, v4, v8, vcc
	v_add_u32_e32 v8, 1, v4
	v_cmp_le_u32_e32 vcc, s20, v7
	v_cndmask_b32_e32 v7, v4, v8, vcc
	v_mov_b32_e32 v8, v3
.LBB0_6:                                ;   in Loop: Header=BB0_2 Depth=1
	s_or_b64 exec, exec, s[0:1]
	v_mul_lo_u32 v4, v8, s20
	v_mul_lo_u32 v11, v7, s21
	v_mad_u64_u32 v[9:10], s[0:1], v7, s20, 0
	s_load_dwordx2 s[0:1], s[6:7], 0x0
	s_add_u32 s18, s18, 1
	v_add3_u32 v4, v10, v11, v4
	v_sub_co_u32_e32 v5, vcc, v5, v9
	v_subb_co_u32_e32 v4, vcc, v6, v4, vcc
	s_waitcnt lgkmcnt(0)
	v_mul_lo_u32 v4, s0, v4
	v_mul_lo_u32 v6, s1, v5
	v_mad_u64_u32 v[1:2], s[0:1], s0, v5, v[1:2]
	s_addc_u32 s19, s19, 0
	s_add_u32 s6, s6, 8
	v_add3_u32 v2, v6, v2, v4
	v_mov_b32_e32 v4, s10
	v_mov_b32_e32 v5, s11
	s_addc_u32 s7, s7, 0
	v_cmp_ge_u64_e32 vcc, s[18:19], v[4:5]
	s_add_u32 s16, s16, 8
	s_addc_u32 s17, s17, 0
	s_cbranch_vccnz .LBB0_9
; %bb.7:                                ;   in Loop: Header=BB0_2 Depth=1
	v_mov_b32_e32 v5, v7
	v_mov_b32_e32 v6, v8
	s_branch .LBB0_2
.LBB0_8:
	v_mov_b32_e32 v8, v6
	v_mov_b32_e32 v7, v5
.LBB0_9:
	s_lshl_b64 s[0:1], s[10:11], 3
	s_add_u32 s0, s14, s0
	s_addc_u32 s1, s15, s1
	s_load_dwordx2 s[6:7], s[0:1], 0x0
	s_load_dwordx2 s[10:11], s[4:5], 0x20
                                        ; implicit-def: $vgpr84
                                        ; implicit-def: $vgpr83
	s_waitcnt lgkmcnt(0)
	v_mad_u64_u32 v[1:2], s[0:1], s6, v7, v[1:2]
	s_mov_b32 s0, 0x3483484
	v_mul_lo_u32 v3, s6, v8
	v_mul_lo_u32 v4, s7, v7
	v_mul_hi_u32 v5, v0, s0
	v_cmp_gt_u64_e32 vcc, s[10:11], v[7:8]
	v_cmp_le_u64_e64 s[0:1], s[10:11], v[7:8]
	v_add3_u32 v2, v4, v2, v3
	v_mul_u32_u24_e32 v3, 0x4e, v5
	v_sub_u32_e32 v82, v0, v3
                                        ; implicit-def: $sgpr6
	s_and_saveexec_b64 s[4:5], s[0:1]
	s_xor_b64 s[0:1], exec, s[4:5]
; %bb.10:
	v_add_u32_e32 v84, 0x4e, v82
	v_add_u32_e32 v83, 0x9c, v82
	s_mov_b32 s6, 0
; %bb.11:
	s_or_saveexec_b64 s[4:5], s[0:1]
	v_lshlrev_b64 v[72:73], 4, v[1:2]
	v_mov_b32_e32 v130, s6
                                        ; implicit-def: $vgpr6_vgpr7
                                        ; implicit-def: $vgpr10_vgpr11
                                        ; implicit-def: $vgpr14_vgpr15
                                        ; implicit-def: $vgpr18_vgpr19
                                        ; implicit-def: $vgpr22_vgpr23
                                        ; implicit-def: $vgpr26_vgpr27
                                        ; implicit-def: $vgpr30_vgpr31
                                        ; implicit-def: $vgpr38_vgpr39
                                        ; implicit-def: $vgpr46_vgpr47
                                        ; implicit-def: $vgpr50_vgpr51
                                        ; implicit-def: $vgpr42_vgpr43
                                        ; implicit-def: $vgpr34_vgpr35
                                        ; implicit-def: $vgpr2_vgpr3
	s_xor_b64 exec, exec, s[4:5]
	s_cbranch_execz .LBB0_13
; %bb.12:
	v_mad_u64_u32 v[0:1], s[0:1], s2, v82, 0
	v_add_u32_e32 v84, 0x4e, v82
	v_mov_b32_e32 v4, s13
	v_mad_u64_u32 v[1:2], s[0:1], s3, v82, v[1:2]
	v_mad_u64_u32 v[2:3], s[0:1], s2, v84, 0
	v_add_co_u32_e64 v8, s[0:1], s12, v72
	v_addc_co_u32_e64 v9, s[0:1], v4, v73, s[0:1]
	v_mad_u64_u32 v[3:4], s[0:1], s3, v84, v[3:4]
	v_add_u32_e32 v83, 0x9c, v82
	v_mad_u64_u32 v[4:5], s[0:1], s2, v83, 0
	v_lshlrev_b64 v[0:1], 4, v[0:1]
	v_mov_b32_e32 v130, v82
	v_add_co_u32_e64 v52, s[0:1], v8, v0
	v_addc_co_u32_e64 v53, s[0:1], v9, v1, s[0:1]
	v_lshlrev_b64 v[0:1], 4, v[2:3]
	v_mov_b32_e32 v2, v5
	v_mad_u64_u32 v[2:3], s[0:1], s3, v83, v[2:3]
	v_add_u32_e32 v3, 0xea, v82
	v_mad_u64_u32 v[6:7], s[0:1], s2, v3, 0
	v_add_co_u32_e64 v54, s[0:1], v8, v0
	v_mov_b32_e32 v5, v2
	v_mov_b32_e32 v2, v7
	v_addc_co_u32_e64 v55, s[0:1], v9, v1, s[0:1]
	v_lshlrev_b64 v[0:1], 4, v[4:5]
	v_mad_u64_u32 v[2:3], s[0:1], s3, v3, v[2:3]
	v_add_u32_e32 v5, 0x138, v82
	v_mad_u64_u32 v[3:4], s[0:1], s2, v5, 0
	v_add_co_u32_e64 v56, s[0:1], v8, v0
	v_mov_b32_e32 v7, v2
	v_mov_b32_e32 v2, v4
	v_addc_co_u32_e64 v57, s[0:1], v9, v1, s[0:1]
	v_lshlrev_b64 v[0:1], 4, v[6:7]
	v_mad_u64_u32 v[4:5], s[0:1], s3, v5, v[2:3]
	v_add_u32_e32 v7, 0x186, v82
	v_mad_u64_u32 v[5:6], s[0:1], s2, v7, 0
	v_add_co_u32_e64 v58, s[0:1], v8, v0
	v_mov_b32_e32 v2, v6
	v_addc_co_u32_e64 v59, s[0:1], v9, v1, s[0:1]
	v_lshlrev_b64 v[0:1], 4, v[3:4]
	v_mad_u64_u32 v[2:3], s[0:1], s3, v7, v[2:3]
	v_add_u32_e32 v7, 0x1d4, v82
	v_mad_u64_u32 v[3:4], s[0:1], s2, v7, 0
	v_add_co_u32_e64 v60, s[0:1], v8, v0
	v_mov_b32_e32 v6, v2
	v_mov_b32_e32 v2, v4
	v_addc_co_u32_e64 v61, s[0:1], v9, v1, s[0:1]
	v_lshlrev_b64 v[0:1], 4, v[5:6]
	v_mad_u64_u32 v[4:5], s[0:1], s3, v7, v[2:3]
	v_add_u32_e32 v7, 0x222, v82
	v_mad_u64_u32 v[5:6], s[0:1], s2, v7, 0
	v_add_co_u32_e64 v62, s[0:1], v8, v0
	;; [unrolled: 15-line block ×4, first 2 shown]
	v_mov_b32_e32 v2, v6
	v_addc_co_u32_e64 v71, s[0:1], v9, v1, s[0:1]
	v_lshlrev_b64 v[0:1], 4, v[3:4]
	v_mad_u64_u32 v[2:3], s[0:1], s3, v7, v[2:3]
	v_add_u32_e32 v7, 0x3a8, v82
	v_mad_u64_u32 v[3:4], s[0:1], s2, v7, 0
	v_add_co_u32_e64 v74, s[0:1], v8, v0
	v_mov_b32_e32 v6, v2
	v_mov_b32_e32 v2, v4
	v_addc_co_u32_e64 v75, s[0:1], v9, v1, s[0:1]
	v_lshlrev_b64 v[0:1], 4, v[5:6]
	v_mad_u64_u32 v[4:5], s[0:1], s3, v7, v[2:3]
	v_add_co_u32_e64 v76, s[0:1], v8, v0
	v_addc_co_u32_e64 v77, s[0:1], v9, v1, s[0:1]
	v_lshlrev_b64 v[0:1], 4, v[3:4]
	v_add_co_u32_e64 v78, s[0:1], v8, v0
	v_addc_co_u32_e64 v79, s[0:1], v9, v1, s[0:1]
	global_load_dwordx4 v[0:3], v[52:53], off
	global_load_dwordx4 v[32:35], v[54:55], off
	;; [unrolled: 1-line block ×13, first 2 shown]
.LBB0_13:
	s_or_b64 exec, exec, s[4:5]
	s_waitcnt vmcnt(11)
	v_add_f64 v[60:61], v[32:33], v[0:1]
	v_add_f64 v[62:63], v[34:35], v[2:3]
	s_waitcnt vmcnt(4)
	v_add_f64 v[64:65], v[36:37], -v[20:21]
	v_add_f64 v[70:71], v[38:39], -v[22:23]
	v_add_f64 v[54:55], v[24:25], v[28:29]
	v_add_f64 v[52:53], v[26:27], v[30:31]
	v_add_f64 v[56:57], v[28:29], -v[24:25]
	v_add_f64 v[58:59], v[30:31], -v[26:27]
	v_add_f64 v[74:75], v[40:41], v[60:61]
	v_add_f64 v[76:77], v[42:43], v[62:63]
	;; [unrolled: 1-line block ×4, first 2 shown]
	s_waitcnt vmcnt(3)
	v_add_f64 v[66:67], v[16:17], v[44:45]
	v_add_f64 v[68:69], v[18:19], v[46:47]
	v_add_f64 v[80:81], v[46:47], -v[18:19]
	s_waitcnt vmcnt(2)
	v_add_f64 v[78:79], v[14:15], v[50:51]
	v_add_f64 v[86:87], v[48:49], v[74:75]
	;; [unrolled: 1-line block ×3, first 2 shown]
	v_add_f64 v[74:75], v[44:45], -v[16:17]
	v_add_f64 v[76:77], v[12:13], v[48:49]
	v_add_f64 v[48:49], v[48:49], -v[12:13]
	v_add_f64 v[50:51], v[50:51], -v[14:15]
	s_waitcnt vmcnt(0)
	v_add_f64 v[92:93], v[6:7], v[34:35]
	v_add_f64 v[34:35], v[34:35], -v[6:7]
	v_add_f64 v[86:87], v[44:45], v[86:87]
	v_add_f64 v[88:89], v[46:47], v[88:89]
	s_mov_b32 s24, 0x42a4c3d2
	s_mov_b32 s30, 0x66966769
	;; [unrolled: 1-line block ×6, first 2 shown]
	v_add_f64 v[36:37], v[36:37], v[86:87]
	v_add_f64 v[38:39], v[38:39], v[88:89]
	s_mov_b32 s18, 0x4267c47c
	s_mov_b32 s25, 0xbfea55e2
	;; [unrolled: 1-line block ×6, first 2 shown]
	v_add_f64 v[28:29], v[28:29], v[36:37]
	v_add_f64 v[30:31], v[30:31], v[38:39]
	;; [unrolled: 1-line block ×4, first 2 shown]
	v_add_f64 v[40:41], v[40:41], -v[8:9]
	v_add_f64 v[42:43], v[42:43], -v[10:11]
	v_add_f64 v[90:91], v[4:5], v[32:33]
	v_add_f64 v[32:33], v[32:33], -v[4:5]
	v_add_f64 v[24:25], v[24:25], v[28:29]
	v_add_f64 v[26:27], v[26:27], v[30:31]
	v_mul_f64 v[28:29], v[34:35], s[20:21]
	s_mov_b32 s14, 0xe00740e9
	s_mov_b32 s6, 0x1ea71119
	;; [unrolled: 1-line block ×5, first 2 shown]
	v_add_f64 v[20:21], v[20:21], v[24:25]
	v_add_f64 v[22:23], v[22:23], v[26:27]
	v_mul_f64 v[24:25], v[34:35], s[30:31]
	v_mul_f64 v[26:27], v[34:35], s[10:11]
	s_mov_b32 s22, 0x93053d00
	s_mov_b32 s15, 0x3fec55a7
	;; [unrolled: 1-line block ×4, first 2 shown]
	v_add_f64 v[16:17], v[16:17], v[20:21]
	v_add_f64 v[18:19], v[18:19], v[22:23]
	v_mul_f64 v[20:21], v[34:35], s[18:19]
	v_mul_f64 v[22:23], v[34:35], s[24:25]
	s_mov_b32 s5, 0xbfd6b1d8
	s_mov_b32 s17, 0xbfe7f3cc
	;; [unrolled: 1-line block ×3, first 2 shown]
	v_fma_f64 v[36:37], v[90:91], s[16:17], v[28:29]
	v_add_f64 v[12:13], v[12:13], v[16:17]
	v_add_f64 v[14:15], v[14:15], v[18:19]
	v_mul_f64 v[16:17], v[34:35], s[28:29]
	v_mul_f64 v[18:19], v[32:33], s[18:19]
	v_fma_f64 v[30:31], v[90:91], s[14:15], v[20:21]
	v_fma_f64 v[20:21], v[90:91], s[14:15], -v[20:21]
	v_fma_f64 v[34:35], v[90:91], s[6:7], v[22:23]
	v_fma_f64 v[22:23], v[90:91], s[6:7], -v[22:23]
	v_add_f64 v[8:9], v[8:9], v[12:13]
	v_add_f64 v[10:11], v[10:11], v[14:15]
	v_fma_f64 v[12:13], v[90:91], s[0:1], v[24:25]
	v_fma_f64 v[14:15], v[90:91], s[0:1], -v[24:25]
	v_fma_f64 v[24:25], v[90:91], s[4:5], v[26:27]
	v_fma_f64 v[26:27], v[90:91], s[4:5], -v[26:27]
	v_fma_f64 v[28:29], v[90:91], s[16:17], -v[28:29]
	v_mul_f64 v[38:39], v[32:33], s[30:31]
	v_add_f64 v[4:5], v[4:5], v[8:9]
	v_add_f64 v[6:7], v[6:7], v[10:11]
	v_fma_f64 v[8:9], v[90:91], s[22:23], v[16:17]
	v_mul_f64 v[10:11], v[32:33], s[24:25]
	v_fma_f64 v[16:17], v[90:91], s[22:23], -v[16:17]
	v_mul_f64 v[88:89], v[32:33], s[10:11]
	v_mul_f64 v[90:91], v[32:33], s[20:21]
	;; [unrolled: 1-line block ×3, first 2 shown]
	v_fma_f64 v[86:87], v[92:93], s[14:15], -v[18:19]
	v_fma_f64 v[18:19], v[92:93], s[14:15], v[18:19]
	v_fma_f64 v[96:97], v[92:93], s[0:1], -v[38:39]
	v_fma_f64 v[94:95], v[92:93], s[6:7], -v[10:11]
	v_fma_f64 v[10:11], v[92:93], s[6:7], v[10:11]
	v_fma_f64 v[38:39], v[92:93], s[0:1], v[38:39]
	v_fma_f64 v[98:99], v[92:93], s[4:5], -v[88:89]
	v_fma_f64 v[88:89], v[92:93], s[4:5], v[88:89]
	v_fma_f64 v[100:101], v[92:93], s[16:17], -v[90:91]
	;; [unrolled: 2-line block ×3, first 2 shown]
	v_fma_f64 v[32:33], v[92:93], s[22:23], v[32:33]
	v_mul_f64 v[92:93], v[42:43], s[24:25]
	v_mul_f64 v[104:105], v[40:41], s[24:25]
	v_add_f64 v[30:31], v[0:1], v[30:31]
	v_add_f64 v[86:87], v[2:3], v[86:87]
	;; [unrolled: 1-line block ×3, first 2 shown]
	v_mul_f64 v[110:111], v[50:51], s[30:31]
	v_mul_f64 v[112:113], v[48:49], s[30:31]
	v_add_f64 v[114:115], v[0:1], v[12:13]
	v_fma_f64 v[10:11], v[44:45], s[6:7], v[92:93]
	v_fma_f64 v[108:109], v[46:47], s[6:7], -v[104:105]
	v_add_f64 v[116:117], v[0:1], v[14:15]
	v_add_f64 v[118:119], v[0:1], v[26:27]
	v_mul_f64 v[120:121], v[64:65], s[20:21]
	v_fma_f64 v[14:15], v[76:77], s[0:1], v[110:111]
	v_add_f64 v[20:21], v[0:1], v[20:21]
	v_add_f64 v[18:19], v[2:3], v[18:19]
	;; [unrolled: 1-line block ×4, first 2 shown]
	v_fma_f64 v[30:31], v[78:79], s[0:1], -v[112:113]
	v_mul_f64 v[86:87], v[80:81], s[10:11]
	v_mul_f64 v[108:109], v[74:75], s[10:11]
	v_add_f64 v[34:35], v[0:1], v[34:35]
	v_add_f64 v[94:95], v[2:3], v[94:95]
	;; [unrolled: 1-line block ×6, first 2 shown]
	v_fma_f64 v[14:15], v[66:67], s[4:5], v[86:87]
	v_fma_f64 v[26:27], v[68:69], s[4:5], -v[108:109]
	v_mul_f64 v[30:31], v[70:71], s[20:21]
	v_add_f64 v[38:39], v[2:3], v[38:39]
	v_add_f64 v[24:25], v[0:1], v[24:25]
	;; [unrolled: 1-line block ×7, first 2 shown]
	v_fma_f64 v[14:15], v[60:61], s[16:17], v[30:31]
	v_fma_f64 v[26:27], v[62:63], s[16:17], -v[120:121]
	v_add_f64 v[100:101], v[2:3], v[100:101]
	v_add_f64 v[122:123], v[0:1], v[28:29]
	;; [unrolled: 1-line block ×7, first 2 shown]
	v_fma_f64 v[0:1], v[44:45], s[6:7], -v[92:93]
	v_fma_f64 v[2:3], v[46:47], s[6:7], v[104:105]
	v_add_f64 v[8:9], v[14:15], v[10:11]
	v_add_f64 v[10:11], v[26:27], v[12:13]
	v_mul_f64 v[16:17], v[42:43], s[10:11]
	v_mul_f64 v[26:27], v[40:41], s[10:11]
	s_mov_b32 s35, 0x3fe5384d
	s_mov_b32 s34, s20
	v_add_f64 v[0:1], v[0:1], v[20:21]
	v_add_f64 v[2:3], v[2:3], v[18:19]
	v_fma_f64 v[18:19], v[76:77], s[0:1], -v[110:111]
	v_fma_f64 v[20:21], v[78:79], s[0:1], v[112:113]
	v_fma_f64 v[92:93], v[44:45], s[4:5], v[16:17]
	v_fma_f64 v[104:105], v[46:47], s[4:5], -v[26:27]
	v_mul_f64 v[110:111], v[50:51], s[28:29]
	v_mul_f64 v[112:113], v[48:49], s[28:29]
	;; [unrolled: 1-line block ×4, first 2 shown]
	v_add_f64 v[0:1], v[18:19], v[0:1]
	v_add_f64 v[2:3], v[20:21], v[2:3]
	v_fma_f64 v[18:19], v[66:67], s[4:5], -v[86:87]
	v_fma_f64 v[20:21], v[68:69], s[4:5], v[108:109]
	v_add_f64 v[34:35], v[92:93], v[34:35]
	v_add_f64 v[86:87], v[104:105], v[94:95]
	v_fma_f64 v[92:93], v[76:77], s[22:23], v[110:111]
	v_fma_f64 v[94:95], v[78:79], s[22:23], -v[112:113]
	v_mul_f64 v[104:105], v[80:81], s[34:35]
	v_mul_f64 v[108:109], v[74:75], s[34:35]
	s_mov_b32 s27, 0x3fefc445
	s_mov_b32 s26, s30
	v_fma_f64 v[28:29], v[54:55], s[22:23], v[12:13]
	v_fma_f64 v[32:33], v[52:53], s[22:23], -v[14:15]
	v_add_f64 v[0:1], v[18:19], v[0:1]
	v_add_f64 v[2:3], v[20:21], v[2:3]
	v_fma_f64 v[18:19], v[60:61], s[16:17], -v[30:31]
	v_fma_f64 v[20:21], v[62:63], s[16:17], v[120:121]
	v_add_f64 v[30:31], v[92:93], v[34:35]
	v_add_f64 v[34:35], v[94:95], v[86:87]
	v_fma_f64 v[86:87], v[66:67], s[16:17], v[104:105]
	v_fma_f64 v[92:93], v[68:69], s[16:17], -v[108:109]
	v_mul_f64 v[94:95], v[70:71], s[26:27]
	v_mul_f64 v[120:121], v[64:65], s[26:27]
	s_mov_b32 s19, 0x3fddbe06
	v_add_f64 v[8:9], v[28:29], v[8:9]
	v_add_f64 v[10:11], v[32:33], v[10:11]
	;; [unrolled: 1-line block ×6, first 2 shown]
	v_fma_f64 v[28:29], v[60:61], s[0:1], v[94:95]
	v_fma_f64 v[30:31], v[62:63], s[0:1], -v[120:121]
	v_mul_f64 v[32:33], v[58:59], s[18:19]
	v_mul_f64 v[34:35], v[56:57], s[18:19]
	v_fma_f64 v[16:17], v[44:45], s[4:5], -v[16:17]
	v_fma_f64 v[26:27], v[46:47], s[4:5], v[26:27]
	v_fma_f64 v[12:13], v[54:55], s[22:23], -v[12:13]
	v_fma_f64 v[14:15], v[52:53], s[22:23], v[14:15]
	v_add_f64 v[18:19], v[28:29], v[18:19]
	v_add_f64 v[20:21], v[30:31], v[20:21]
	v_fma_f64 v[28:29], v[54:55], s[14:15], v[32:33]
	v_fma_f64 v[30:31], v[52:53], s[14:15], -v[34:35]
	v_add_f64 v[16:17], v[16:17], v[22:23]
	v_add_f64 v[22:23], v[26:27], v[106:107]
	v_fma_f64 v[26:27], v[76:77], s[22:23], -v[110:111]
	v_fma_f64 v[86:87], v[78:79], s[22:23], v[112:113]
	v_add_f64 v[0:1], v[12:13], v[0:1]
	v_add_f64 v[2:3], v[14:15], v[2:3]
	v_mul_f64 v[92:93], v[42:43], s[28:29]
	v_mul_f64 v[106:107], v[40:41], s[28:29]
	v_add_f64 v[12:13], v[28:29], v[18:19]
	v_add_f64 v[14:15], v[30:31], v[20:21]
	;; [unrolled: 1-line block ×4, first 2 shown]
	v_fma_f64 v[20:21], v[66:67], s[16:17], -v[104:105]
	v_fma_f64 v[22:23], v[68:69], s[16:17], v[108:109]
	s_mov_b32 s37, 0x3fedeba7
	s_mov_b32 s36, s10
	v_fma_f64 v[26:27], v[44:45], s[22:23], v[92:93]
	v_fma_f64 v[28:29], v[46:47], s[22:23], -v[106:107]
	v_mul_f64 v[30:31], v[50:51], s[36:37]
	v_mul_f64 v[86:87], v[48:49], s[36:37]
	v_add_f64 v[16:17], v[20:21], v[16:17]
	v_add_f64 v[18:19], v[22:23], v[18:19]
	v_fma_f64 v[20:21], v[60:61], s[0:1], -v[94:95]
	v_fma_f64 v[22:23], v[62:63], s[0:1], v[120:121]
	v_add_f64 v[26:27], v[26:27], v[114:115]
	v_add_f64 v[28:29], v[28:29], v[96:97]
	v_fma_f64 v[94:95], v[76:77], s[4:5], v[30:31]
	v_fma_f64 v[96:97], v[78:79], s[4:5], -v[86:87]
	v_mul_f64 v[104:105], v[80:81], s[18:19]
	v_mul_f64 v[108:109], v[74:75], s[18:19]
	v_add_f64 v[16:17], v[20:21], v[16:17]
	v_add_f64 v[18:19], v[22:23], v[18:19]
	v_fma_f64 v[20:21], v[54:55], s[14:15], -v[32:33]
	v_fma_f64 v[22:23], v[52:53], s[14:15], v[34:35]
	v_add_f64 v[26:27], v[94:95], v[26:27]
	v_add_f64 v[28:29], v[96:97], v[28:29]
	;; [unrolled: 10-line block ×6, first 2 shown]
	v_fma_f64 v[28:29], v[76:77], s[14:15], v[32:33]
	v_fma_f64 v[98:99], v[78:79], s[14:15], -v[34:35]
	v_mul_f64 v[104:105], v[80:81], s[30:31]
	v_mul_f64 v[108:109], v[74:75], s[30:31]
	v_add_f64 v[30:31], v[94:95], v[30:31]
	v_add_f64 v[38:39], v[96:97], v[38:39]
	v_fma_f64 v[94:95], v[52:53], s[16:17], v[106:107]
	s_mov_b32 s31, 0x3fcea1e5
	s_mov_b32 s30, s28
	v_fma_f64 v[92:93], v[54:55], s[16:17], -v[92:93]
	v_add_f64 v[28:29], v[28:29], v[24:25]
	v_add_f64 v[96:97], v[98:99], v[26:27]
	v_fma_f64 v[98:99], v[66:67], s[0:1], v[104:105]
	v_fma_f64 v[106:107], v[68:69], s[0:1], -v[108:109]
	v_mul_f64 v[112:113], v[70:71], s[30:31]
	v_mul_f64 v[114:115], v[64:65], s[30:31]
	v_add_f64 v[26:27], v[94:95], v[38:39]
	v_fma_f64 v[38:39], v[44:45], s[16:17], -v[86:87]
	v_fma_f64 v[86:87], v[46:47], s[16:17], v[110:111]
	s_mov_b32 s29, 0x3fea55e2
	s_mov_b32 s28, s24
	v_add_f64 v[24:25], v[92:93], v[30:31]
	v_add_f64 v[28:29], v[98:99], v[28:29]
	;; [unrolled: 1-line block ×3, first 2 shown]
	v_fma_f64 v[92:93], v[60:61], s[22:23], v[112:113]
	v_fma_f64 v[94:95], v[62:63], s[22:23], -v[114:115]
	v_mul_f64 v[96:97], v[58:59], s[28:29]
	v_mul_f64 v[98:99], v[56:57], s[28:29]
	v_add_f64 v[38:39], v[38:39], v[118:119]
	v_add_f64 v[86:87], v[86:87], v[88:89]
	v_fma_f64 v[32:33], v[76:77], s[14:15], -v[32:33]
	v_fma_f64 v[34:35], v[78:79], s[14:15], v[34:35]
	v_add_f64 v[28:29], v[92:93], v[28:29]
	v_add_f64 v[30:31], v[94:95], v[30:31]
	v_fma_f64 v[88:89], v[54:55], s[6:7], v[96:97]
	v_fma_f64 v[92:93], v[52:53], s[6:7], -v[98:99]
	v_mul_f64 v[94:95], v[42:43], s[26:27]
	v_mul_f64 v[106:107], v[40:41], s[26:27]
	v_add_f64 v[32:33], v[32:33], v[38:39]
	v_add_f64 v[34:35], v[34:35], v[86:87]
	v_fma_f64 v[38:39], v[66:67], s[0:1], -v[104:105]
	v_fma_f64 v[86:87], v[68:69], s[0:1], v[108:109]
	v_add_f64 v[28:29], v[88:89], v[28:29]
	v_add_f64 v[30:31], v[92:93], v[30:31]
	;; [unrolled: 10-line block ×5, first 2 shown]
	v_fma_f64 v[92:93], v[60:61], s[14:15], v[100:101]
	v_fma_f64 v[94:95], v[62:63], s[14:15], -v[106:107]
	v_mul_f64 v[108:109], v[58:59], s[10:11]
	v_mul_f64 v[114:115], v[56:57], s[10:11]
	v_add_f64 v[38:39], v[90:91], v[38:39]
	v_fma_f64 v[90:91], v[66:67], s[22:23], -v[110:111]
	v_fma_f64 v[100:101], v[60:61], s[14:15], -v[100:101]
	v_mul_f64 v[42:43], v[42:43], s[18:19]
	v_add_f64 v[36:37], v[92:93], v[36:37]
	v_add_f64 v[88:89], v[94:95], v[88:89]
	v_fma_f64 v[92:93], v[54:55], s[4:5], v[108:109]
	v_fma_f64 v[94:95], v[52:53], s[4:5], -v[114:115]
	v_mul_f64 v[40:41], v[40:41], s[18:19]
	v_add_f64 v[90:91], v[90:91], v[38:39]
	v_mul_f64 v[50:51], v[50:51], s[20:21]
	v_mul_f64 v[48:49], v[48:49], s[20:21]
	;; [unrolled: 1-line block ×4, first 2 shown]
	v_add_f64 v[36:37], v[92:93], v[36:37]
	v_add_f64 v[38:39], v[94:95], v[88:89]
	v_fma_f64 v[92:93], v[46:47], s[14:15], -v[40:41]
	v_add_f64 v[88:89], v[100:101], v[90:91]
	v_fma_f64 v[90:91], v[44:45], s[14:15], v[42:43]
	v_fma_f64 v[42:43], v[44:45], s[14:15], -v[42:43]
	v_fma_f64 v[40:41], v[46:47], s[14:15], v[40:41]
	v_add_f64 v[86:87], v[104:105], v[86:87]
	v_fma_f64 v[104:105], v[68:69], s[22:23], v[112:113]
	v_mul_f64 v[70:71], v[70:71], s[10:11]
	v_add_f64 v[46:47], v[92:93], v[102:103]
	v_fma_f64 v[92:93], v[78:79], s[16:17], -v[48:49]
	v_add_f64 v[44:45], v[90:91], v[124:125]
	v_fma_f64 v[90:91], v[76:77], s[16:17], v[50:51]
	v_add_f64 v[42:43], v[42:43], v[126:127]
	v_add_f64 v[40:41], v[40:41], v[128:129]
	v_fma_f64 v[50:51], v[76:77], s[16:17], -v[50:51]
	v_fma_f64 v[48:49], v[78:79], s[16:17], v[48:49]
	v_fma_f64 v[76:77], v[66:67], s[6:7], v[80:81]
	v_add_f64 v[46:47], v[92:93], v[46:47]
	v_fma_f64 v[78:79], v[68:69], s[6:7], -v[74:75]
	v_add_f64 v[44:45], v[90:91], v[44:45]
	v_mul_f64 v[64:65], v[64:65], s[10:11]
	v_fma_f64 v[96:97], v[54:55], s[6:7], -v[96:97]
	v_add_f64 v[42:43], v[50:51], v[42:43]
	v_add_f64 v[40:41], v[48:49], v[40:41]
	v_fma_f64 v[50:51], v[68:69], s[6:7], v[74:75]
	v_fma_f64 v[48:49], v[66:67], s[6:7], -v[80:81]
	v_add_f64 v[86:87], v[104:105], v[86:87]
	v_fma_f64 v[104:105], v[62:63], s[14:15], v[106:107]
	v_add_f64 v[44:45], v[76:77], v[44:45]
	v_add_f64 v[46:47], v[78:79], v[46:47]
	v_fma_f64 v[66:67], v[60:61], s[4:5], v[70:71]
	v_fma_f64 v[68:69], v[62:63], s[4:5], -v[64:65]
	v_mul_f64 v[58:59], v[58:59], s[26:27]
	v_mul_f64 v[56:57], v[56:57], s[26:27]
	v_add_f64 v[50:51], v[50:51], v[40:41]
	v_fma_f64 v[62:63], v[62:63], s[4:5], v[64:65]
	v_add_f64 v[48:49], v[48:49], v[42:43]
	v_fma_f64 v[60:61], v[60:61], s[4:5], -v[70:71]
	v_fma_f64 v[98:99], v[52:53], s[6:7], v[98:99]
	v_add_f64 v[32:33], v[96:97], v[32:33]
	v_fma_f64 v[96:97], v[52:53], s[4:5], v[114:115]
	v_add_f64 v[44:45], v[66:67], v[44:45]
	v_add_f64 v[46:47], v[68:69], v[46:47]
	v_fma_f64 v[64:65], v[54:55], s[0:1], v[58:59]
	v_fma_f64 v[66:67], v[52:53], s[0:1], -v[56:57]
	v_add_f64 v[50:51], v[62:63], v[50:51]
	v_fma_f64 v[52:53], v[52:53], s[0:1], v[56:57]
	v_add_f64 v[86:87], v[104:105], v[86:87]
	v_fma_f64 v[94:95], v[54:55], s[4:5], -v[108:109]
	v_add_f64 v[48:49], v[60:61], v[48:49]
	v_fma_f64 v[54:55], v[54:55], s[0:1], -v[58:59]
	v_and_b32_e32 v56, 1, v85
	v_mov_b32_e32 v57, 0x3f6
	v_cmp_eq_u32_e64 s[0:1], 1, v56
	v_cndmask_b32_e64 v78, 0, v57, s[0:1]
	v_lshl_add_u32 v56, v78, 4, 0
	s_movk_i32 s0, 0xd0
	v_add_f64 v[44:45], v[64:65], v[44:45]
	v_add_f64 v[46:47], v[66:67], v[46:47]
	;; [unrolled: 1-line block ×3, first 2 shown]
	v_mad_u32_u24 v52, v82, s0, v56
	s_movk_i32 s0, 0xff40
	v_add_f64 v[34:35], v[98:99], v[34:35]
	v_add_f64 v[40:41], v[94:95], v[88:89]
	;; [unrolled: 1-line block ×4, first 2 shown]
	v_lshl_add_u32 v75, v82, 4, v56
	v_mad_i32_i24 v74, v82, s0, v52
	ds_write_b128 v52, v[4:7]
	ds_write_b128 v52, v[8:11] offset:16
	ds_write_b128 v52, v[12:15] offset:32
	;; [unrolled: 1-line block ×12, first 2 shown]
	s_waitcnt lgkmcnt(0)
	s_barrier
	ds_read_b128 v[24:27], v75
	ds_read_b128 v[52:55], v74 offset:2704
	v_lshl_add_u32 v76, v84, 4, v56
	ds_read_b128 v[56:59], v74 offset:5408
	ds_read_b128 v[32:35], v74 offset:3952
	;; [unrolled: 1-line block ×8, first 2 shown]
	ds_read_b128 v[28:31], v76
	ds_read_b128 v[48:51], v74 offset:14768
	v_cmp_gt_u32_e64 s[0:1], 13, v82
	v_lshlrev_b32_e32 v77, 4, v83
	v_lshlrev_b32_e32 v78, 4, v78
                                        ; implicit-def: $vgpr22_vgpr23
                                        ; implicit-def: $vgpr18_vgpr19
                                        ; implicit-def: $vgpr14_vgpr15
                                        ; implicit-def: $vgpr10_vgpr11
                                        ; implicit-def: $vgpr6_vgpr7
	s_and_saveexec_b64 s[4:5], s[0:1]
	s_cbranch_execz .LBB0_15
; %bb.14:
	v_add3_u32 v0, 0, v77, v78
	ds_read_b128 v[4:7], v74 offset:5200
	ds_read_b128 v[8:11], v74 offset:7904
	;; [unrolled: 1-line block ×4, first 2 shown]
	ds_read_b128 v[0:3], v0
	ds_read_b128 v[20:23], v74 offset:16016
.LBB0_15:
	s_or_b64 exec, exec, s[4:5]
	s_movk_i32 s14, 0x4f
	v_mul_lo_u16_sdwa v79, v82, s14 dst_sel:DWORD dst_unused:UNUSED_PAD src0_sel:BYTE_0 src1_sel:DWORD
	v_lshrrev_b16_e32 v80, 10, v79
	v_mul_lo_u16_e32 v79, 13, v80
	v_sub_u16_e32 v81, v82, v79
	v_mov_b32_e32 v79, 5
	v_mul_u32_u24_sdwa v85, v81, v79 dst_sel:DWORD dst_unused:UNUSED_PAD src0_sel:BYTE_0 src1_sel:DWORD
	v_lshlrev_b32_e32 v102, 4, v85
	v_mul_lo_u16_sdwa v85, v84, s14 dst_sel:DWORD dst_unused:UNUSED_PAD src0_sel:BYTE_0 src1_sel:DWORD
	v_lshrrev_b16_e32 v85, 10, v85
	v_mul_lo_u16_e32 v103, 13, v85
	global_load_dwordx4 v[86:89], v102, s[8:9] offset:16
	global_load_dwordx4 v[90:93], v102, s[8:9]
	global_load_dwordx4 v[94:97], v102, s[8:9] offset:48
	global_load_dwordx4 v[98:101], v102, s[8:9] offset:32
	v_sub_u16_e32 v84, v84, v103
	global_load_dwordx4 v[102:105], v102, s[8:9] offset:64
	v_mul_u32_u24_sdwa v106, v84, v79 dst_sel:DWORD dst_unused:UNUSED_PAD src0_sel:BYTE_0 src1_sel:DWORD
	v_lshlrev_b32_e32 v126, 4, v106
	global_load_dwordx4 v[106:109], v126, s[8:9]
	global_load_dwordx4 v[110:113], v126, s[8:9] offset:16
	global_load_dwordx4 v[114:117], v126, s[8:9] offset:32
	;; [unrolled: 1-line block ×4, first 2 shown]
	s_mov_b32 s4, 0xe8584caa
	s_mov_b32 s5, 0xbfebb67a
	;; [unrolled: 1-line block ×4, first 2 shown]
	s_movk_i32 s10, 0x4e0
	s_waitcnt vmcnt(0) lgkmcnt(0)
	s_barrier
	v_mul_f64 v[128:129], v[58:59], v[88:89]
	v_mul_f64 v[126:127], v[54:55], v[92:93]
	v_mul_f64 v[92:93], v[52:53], v[92:93]
	v_mul_f64 v[131:132], v[62:63], v[100:101]
	v_mul_f64 v[100:101], v[60:61], v[100:101]
	v_mul_f64 v[135:136], v[70:71], v[104:105]
	v_mul_f64 v[104:105], v[68:69], v[104:105]
	v_mul_f64 v[88:89], v[56:57], v[88:89]
	v_mul_f64 v[133:134], v[66:67], v[96:97]
	v_mul_f64 v[139:140], v[38:39], v[112:113]
	v_mul_f64 v[112:113], v[36:37], v[112:113]
	v_mul_f64 v[143:144], v[46:47], v[120:121]
	v_mul_f64 v[120:121], v[44:45], v[120:121]
	v_fma_f64 v[54:55], v[54:55], v[90:91], -v[92:93]
	v_fma_f64 v[62:63], v[62:63], v[98:99], -v[100:101]
	;; [unrolled: 1-line block ×3, first 2 shown]
	v_mul_f64 v[96:97], v[64:65], v[96:97]
	v_mul_f64 v[137:138], v[34:35], v[108:109]
	;; [unrolled: 1-line block ×7, first 2 shown]
	v_fma_f64 v[52:53], v[52:53], v[90:91], v[126:127]
	v_fma_f64 v[56:57], v[56:57], v[86:87], v[128:129]
	v_fma_f64 v[58:59], v[58:59], v[86:87], -v[88:89]
	v_fma_f64 v[60:61], v[60:61], v[98:99], v[131:132]
	v_fma_f64 v[64:65], v[64:65], v[94:95], v[133:134]
	;; [unrolled: 1-line block ×3, first 2 shown]
	v_fma_f64 v[38:39], v[38:39], v[110:111], -v[112:113]
	v_fma_f64 v[46:47], v[46:47], v[118:119], -v[120:121]
	v_add_f64 v[98:99], v[62:63], -v[70:71]
	v_add_f64 v[100:101], v[54:55], v[62:63]
	v_add_f64 v[62:63], v[62:63], v[70:71]
	v_fma_f64 v[66:67], v[66:67], v[94:95], -v[96:97]
	v_fma_f64 v[34:35], v[34:35], v[106:107], -v[108:109]
	v_fma_f64 v[40:41], v[40:41], v[114:115], v[141:142]
	v_fma_f64 v[42:43], v[42:43], v[114:115], -v[116:117]
	v_fma_f64 v[48:49], v[48:49], v[122:123], v[145:146]
	;; [unrolled: 2-line block ×3, first 2 shown]
	v_fma_f64 v[44:45], v[44:45], v[118:119], v[143:144]
	v_fma_f64 v[32:33], v[32:33], v[106:107], v[137:138]
	v_add_f64 v[88:89], v[56:57], v[64:65]
	v_add_f64 v[92:93], v[26:27], v[58:59]
	v_add_f64 v[94:95], v[52:53], v[60:61]
	v_add_f64 v[96:97], v[60:61], v[68:69]
	v_add_f64 v[60:61], v[60:61], -v[68:69]
	v_add_f64 v[106:107], v[38:39], -v[46:47]
	v_add_f64 v[108:109], v[30:31], v[38:39]
	v_add_f64 v[38:39], v[38:39], v[46:47]
	v_fma_f64 v[54:55], v[62:63], -0.5, v[54:55]
	v_add_f64 v[86:87], v[24:25], v[56:57]
	v_add_f64 v[90:91], v[58:59], -v[66:67]
	v_add_f64 v[58:59], v[58:59], v[66:67]
	v_add_f64 v[112:113], v[40:41], v[48:49]
	v_add_f64 v[114:115], v[42:43], -v[50:51]
	v_add_f64 v[116:117], v[34:35], v[42:43]
	v_add_f64 v[42:43], v[42:43], v[50:51]
	;; [unrolled: 1-line block ×4, first 2 shown]
	v_add_f64 v[36:37], v[36:37], -v[44:45]
	v_fma_f64 v[24:25], v[88:89], -0.5, v[24:25]
	v_add_f64 v[66:67], v[92:93], v[66:67]
	v_fma_f64 v[52:53], v[96:97], -0.5, v[52:53]
	v_fma_f64 v[38:39], v[38:39], -0.5, v[30:31]
	v_fma_f64 v[92:93], v[60:61], s[6:7], v[54:55]
	v_fma_f64 v[54:55], v[60:61], s[4:5], v[54:55]
	v_add_f64 v[56:57], v[56:57], -v[64:65]
	v_add_f64 v[110:111], v[32:33], v[40:41]
	v_add_f64 v[40:41], v[40:41], -v[48:49]
	v_add_f64 v[64:65], v[86:87], v[64:65]
	v_fma_f64 v[26:27], v[58:59], -0.5, v[26:27]
	v_add_f64 v[58:59], v[94:95], v[68:69]
	v_add_f64 v[68:69], v[100:101], v[70:71]
	;; [unrolled: 1-line block ×3, first 2 shown]
	v_fma_f64 v[46:47], v[112:113], -0.5, v[32:33]
	v_fma_f64 v[33:34], v[42:43], -0.5, v[34:35]
	v_add_f64 v[62:63], v[102:103], v[44:45]
	v_fma_f64 v[44:45], v[104:105], -0.5, v[28:29]
	v_fma_f64 v[42:43], v[90:91], s[4:5], v[24:25]
	v_fma_f64 v[86:87], v[90:91], s[6:7], v[24:25]
	;; [unrolled: 1-line block ×6, first 2 shown]
	v_mul_f64 v[35:36], v[92:93], s[4:5]
	v_mul_f64 v[37:38], v[54:55], s[4:5]
	v_fma_f64 v[88:89], v[56:57], s[6:7], v[26:27]
	v_fma_f64 v[56:57], v[56:57], s[4:5], v[26:27]
	v_add_f64 v[25:26], v[64:65], v[58:59]
	v_add_f64 v[29:30], v[64:65], -v[58:59]
	v_mul_f64 v[54:55], v[54:55], -0.5
	v_fma_f64 v[58:59], v[40:41], s[6:7], v[33:34]
	v_fma_f64 v[33:34], v[40:41], s[4:5], v[33:34]
	v_add_f64 v[27:28], v[66:67], v[68:69]
	v_add_f64 v[31:32], v[66:67], -v[68:69]
	v_fma_f64 v[64:65], v[106:107], s[4:5], v[44:45]
	v_fma_f64 v[67:68], v[106:107], s[6:7], v[44:45]
	v_mul_f64 v[44:45], v[92:93], 0.5
	v_fma_f64 v[60:61], v[114:115], s[4:5], v[46:47]
	v_fma_f64 v[92:93], v[114:115], s[6:7], v[46:47]
	v_fma_f64 v[46:47], v[90:91], 0.5, v[35:36]
	v_fma_f64 v[98:99], v[52:53], -0.5, v[37:38]
	v_fma_f64 v[52:53], v[52:53], s[6:7], v[54:55]
	v_mul_f64 v[54:55], v[58:59], s[4:5]
	v_mul_f64 v[58:59], v[58:59], 0.5
	v_mul_f64 v[100:101], v[33:34], s[4:5]
	v_mul_f64 v[102:103], v[33:34], -0.5
	v_fma_f64 v[90:91], v[90:91], s[6:7], v[44:45]
	v_add_f64 v[33:34], v[42:43], v[46:47]
	v_add_f64 v[37:38], v[86:87], v[98:99]
	v_add_f64 v[41:42], v[42:43], -v[46:47]
	v_add_f64 v[45:46], v[86:87], -v[98:99]
	v_add_f64 v[86:87], v[110:111], v[48:49]
	v_add_f64 v[104:105], v[116:117], v[50:51]
	v_fma_f64 v[98:99], v[60:61], 0.5, v[54:55]
	v_fma_f64 v[106:107], v[60:61], s[6:7], v[58:59]
	v_fma_f64 v[100:101], v[92:93], -0.5, v[100:101]
	v_fma_f64 v[92:93], v[92:93], s[6:7], v[102:103]
	v_add_f64 v[35:36], v[88:89], v[90:91]
	v_add_f64 v[39:40], v[56:57], v[52:53]
	v_add_f64 v[47:48], v[56:57], -v[52:53]
	v_add_f64 v[49:50], v[62:63], v[86:87]
	v_add_f64 v[51:52], v[70:71], v[104:105]
	;; [unrolled: 1-line block ×4, first 2 shown]
	v_add_f64 v[43:44], v[88:89], -v[90:91]
	v_add_f64 v[57:58], v[67:68], v[100:101]
	v_add_f64 v[59:60], v[96:97], v[92:93]
	v_add_f64 v[61:62], v[62:63], -v[86:87]
	v_add_f64 v[65:66], v[64:65], -v[98:99]
	;; [unrolled: 1-line block ×3, first 2 shown]
	v_mov_b32_e32 v24, 4
	v_add_f64 v[86:87], v[67:68], -v[100:101]
	v_add_f64 v[67:68], v[94:95], -v[106:107]
	v_mad_u32_u24 v69, v80, s10, 0
	v_lshlrev_b32_sdwa v70, v24, v81 dst_sel:DWORD dst_unused:UNUSED_PAD src0_sel:DWORD src1_sel:BYTE_0
	v_add_f64 v[88:89], v[96:97], -v[92:93]
	v_add3_u32 v69, v69, v70, v78
	ds_write_b128 v69, v[25:28]
	ds_write_b128 v69, v[33:36] offset:208
	ds_write_b128 v69, v[37:40] offset:416
	;; [unrolled: 1-line block ×5, first 2 shown]
	v_mad_u32_u24 v25, v85, s10, 0
	v_lshlrev_b32_sdwa v26, v24, v84 dst_sel:DWORD dst_unused:UNUSED_PAD src0_sel:DWORD src1_sel:BYTE_0
	v_add3_u32 v25, v25, v26, v78
	ds_write_b128 v25, v[49:52]
	ds_write_b128 v25, v[53:56] offset:208
	ds_write_b128 v25, v[57:60] offset:416
	;; [unrolled: 1-line block ×5, first 2 shown]
	s_and_saveexec_b64 s[10:11], s[0:1]
	s_cbranch_execz .LBB0_17
; %bb.16:
	v_mul_lo_u16_sdwa v25, v83, s14 dst_sel:DWORD dst_unused:UNUSED_PAD src0_sel:BYTE_0 src1_sel:DWORD
	v_lshrrev_b16_e32 v25, 10, v25
	v_mul_lo_u16_e32 v25, 13, v25
	v_sub_u16_e32 v55, v83, v25
	v_mul_u32_u24_sdwa v25, v55, v79 dst_sel:DWORD dst_unused:UNUSED_PAD src0_sel:BYTE_0 src1_sel:DWORD
	v_lshlrev_b32_e32 v45, 4, v25
	global_load_dwordx4 v[25:28], v45, s[8:9] offset:16
	global_load_dwordx4 v[29:32], v45, s[8:9] offset:48
	;; [unrolled: 1-line block ×4, first 2 shown]
	global_load_dwordx4 v[41:44], v45, s[8:9]
	v_lshlrev_b32_sdwa v24, v24, v55 dst_sel:DWORD dst_unused:UNUSED_PAD src0_sel:DWORD src1_sel:BYTE_0
	v_add3_u32 v24, 0, v24, v78
	s_waitcnt vmcnt(4)
	v_mul_f64 v[45:46], v[8:9], v[27:28]
	s_waitcnt vmcnt(3)
	v_mul_f64 v[47:48], v[16:17], v[31:32]
	;; [unrolled: 2-line block ×4, first 2 shown]
	v_mul_f64 v[27:28], v[10:11], v[27:28]
	s_waitcnt vmcnt(0)
	v_mul_f64 v[53:54], v[6:7], v[43:44]
	v_mul_f64 v[35:36], v[14:15], v[35:36]
	;; [unrolled: 1-line block ×5, first 2 shown]
	v_fma_f64 v[14:15], v[14:15], v[33:34], -v[49:50]
	v_fma_f64 v[22:23], v[22:23], v[37:38], -v[51:52]
	;; [unrolled: 1-line block ×4, first 2 shown]
	v_fma_f64 v[8:9], v[8:9], v[25:26], v[27:28]
	v_fma_f64 v[12:13], v[12:13], v[33:34], v[35:36]
	;; [unrolled: 1-line block ×3, first 2 shown]
	v_fma_f64 v[6:7], v[6:7], v[41:42], -v[43:44]
	v_fma_f64 v[16:17], v[16:17], v[29:30], v[31:32]
	v_add_f64 v[25:26], v[14:15], v[22:23]
	v_fma_f64 v[4:5], v[4:5], v[41:42], v[53:54]
	v_add_f64 v[27:28], v[10:11], v[18:19]
	v_add_f64 v[31:32], v[14:15], -v[22:23]
	v_add_f64 v[37:38], v[2:3], v[10:11]
	v_add_f64 v[33:34], v[12:13], v[20:21]
	v_add_f64 v[35:36], v[12:13], -v[20:21]
	v_add_f64 v[14:15], v[6:7], v[14:15]
	v_fma_f64 v[6:7], v[25:26], -0.5, v[6:7]
	v_add_f64 v[29:30], v[8:9], -v[16:17]
	v_add_f64 v[25:26], v[8:9], v[16:17]
	v_add_f64 v[8:9], v[0:1], v[8:9]
	v_add_f64 v[12:13], v[4:5], v[12:13]
	v_fma_f64 v[2:3], v[27:28], -0.5, v[2:3]
	v_fma_f64 v[4:5], v[33:34], -0.5, v[4:5]
	v_add_f64 v[10:11], v[10:11], -v[18:19]
	v_fma_f64 v[27:28], v[35:36], s[4:5], v[6:7]
	v_fma_f64 v[6:7], v[35:36], s[6:7], v[6:7]
	v_add_f64 v[14:15], v[14:15], v[22:23]
	v_fma_f64 v[0:1], v[25:26], -0.5, v[0:1]
	v_add_f64 v[8:9], v[8:9], v[16:17]
	v_add_f64 v[12:13], v[12:13], v[20:21]
	v_fma_f64 v[16:17], v[31:32], s[6:7], v[4:5]
	v_fma_f64 v[4:5], v[31:32], s[4:5], v[4:5]
	v_mul_f64 v[20:21], v[27:28], -0.5
	v_mul_f64 v[22:23], v[6:7], 0.5
	v_mul_f64 v[6:7], v[6:7], s[4:5]
	v_mul_f64 v[27:28], v[27:28], s[4:5]
	v_add_f64 v[18:19], v[37:38], v[18:19]
	v_fma_f64 v[25:26], v[29:30], s[4:5], v[2:3]
	v_fma_f64 v[29:30], v[29:30], s[6:7], v[2:3]
	v_fma_f64 v[33:34], v[10:11], s[4:5], v[0:1]
	v_fma_f64 v[20:21], v[16:17], s[6:7], v[20:21]
	v_fma_f64 v[22:23], v[4:5], s[6:7], v[22:23]
	v_fma_f64 v[35:36], v[4:5], 0.5, v[6:7]
	v_fma_f64 v[31:32], v[10:11], s[6:7], v[0:1]
	v_fma_f64 v[27:28], v[16:17], -0.5, v[27:28]
	v_add_f64 v[6:7], v[18:19], v[14:15]
	v_add_f64 v[4:5], v[8:9], v[12:13]
	v_add_f64 v[2:3], v[18:19], -v[14:15]
	v_add_f64 v[0:1], v[8:9], -v[12:13]
	;; [unrolled: 1-line block ×4, first 2 shown]
	v_add_f64 v[18:19], v[25:26], v[20:21]
	v_add_f64 v[22:23], v[29:30], v[22:23]
	;; [unrolled: 1-line block ×4, first 2 shown]
	v_add_f64 v[12:13], v[33:34], -v[35:36]
	v_add_f64 v[8:9], v[31:32], -v[27:28]
	ds_write_b128 v24, v[4:7] offset:14976
	ds_write_b128 v24, v[0:3] offset:15600
	;; [unrolled: 1-line block ×6, first 2 shown]
.LBB0_17:
	s_or_b64 exec, exec, s[10:11]
	s_waitcnt lgkmcnt(0)
	s_barrier
	s_and_saveexec_b64 s[0:1], vcc
	s_cbranch_execz .LBB0_19
; %bb.18:
	v_mul_u32_u24_e32 v0, 12, v82
	v_lshlrev_b32_e32 v0, 4, v0
	global_load_dwordx4 v[8:11], v0, s[8:9] offset:1120
	global_load_dwordx4 v[4:7], v0, s[8:9] offset:1136
	;; [unrolled: 1-line block ×12, first 2 shown]
	ds_read_b128 v[44:47], v74 offset:7488
	ds_read_b128 v[48:51], v74 offset:8736
	;; [unrolled: 1-line block ×6, first 2 shown]
	v_add3_u32 v32, 0, v77, v78
	ds_read_b128 v[96:99], v74 offset:12480
	ds_read_b128 v[100:103], v74 offset:13728
	;; [unrolled: 1-line block ×3, first 2 shown]
	ds_read_b128 v[0:3], v75
	ds_read_b128 v[75:78], v76
	ds_read_b128 v[108:111], v74 offset:14976
	ds_read_b128 v[114:117], v32
	s_mov_b32 s16, 0x4bc48dbf
	s_mov_b32 s17, 0xbfcea1e5
	;; [unrolled: 1-line block ×31, first 2 shown]
	s_waitcnt vmcnt(11) lgkmcnt(12)
	v_mul_f64 v[32:33], v[10:11], v[46:47]
	v_mul_f64 v[10:11], v[44:45], v[10:11]
	s_waitcnt vmcnt(10) lgkmcnt(11)
	v_mul_f64 v[38:39], v[6:7], v[50:51]
	s_waitcnt vmcnt(8) lgkmcnt(8)
	v_mul_f64 v[112:113], v[14:15], v[89:90]
	v_mul_f64 v[6:7], v[48:49], v[6:7]
	s_waitcnt vmcnt(6) lgkmcnt(7)
	v_mul_f64 v[120:121], v[26:27], v[94:95]
	;; [unrolled: 3-line block ×3, first 2 shown]
	s_waitcnt vmcnt(4)
	v_mul_f64 v[124:125], v[54:55], v[98:99]
	v_mul_f64 v[126:127], v[96:97], v[54:55]
	s_waitcnt vmcnt(1) lgkmcnt(2)
	v_mul_f64 v[135:136], v[36:37], v[77:78]
	s_waitcnt vmcnt(0) lgkmcnt(1)
	v_mul_f64 v[137:138], v[70:71], v[110:111]
	v_mul_f64 v[36:37], v[75:76], v[36:37]
	;; [unrolled: 1-line block ×3, first 2 shown]
	s_waitcnt lgkmcnt(0)
	v_mul_f64 v[128:129], v[42:43], v[116:117]
	v_mul_f64 v[131:132], v[64:65], v[102:103]
	;; [unrolled: 1-line block ×4, first 2 shown]
	v_fma_f64 v[54:55], v[8:9], v[44:45], v[32:33]
	v_fma_f64 v[44:45], v[12:13], v[87:88], v[112:113]
	;; [unrolled: 1-line block ×5, first 2 shown]
	v_fma_f64 v[120:121], v[34:35], v[77:78], -v[36:37]
	v_fma_f64 v[34:35], v[68:69], v[110:111], -v[70:71]
	v_mul_f64 v[30:31], v[104:105], v[30:31]
	v_fma_f64 v[58:59], v[8:9], v[46:47], -v[10:11]
	v_fma_f64 v[46:47], v[24:25], v[94:95], -v[26:27]
	v_fma_f64 v[94:95], v[28:29], v[104:105], v[122:123]
	v_fma_f64 v[104:105], v[40:41], v[114:115], v[128:129]
	;; [unrolled: 1-line block ×3, first 2 shown]
	v_fma_f64 v[116:117], v[40:41], v[116:117], -v[133:134]
	v_fma_f64 v[40:41], v[62:63], v[102:103], -v[64:65]
	v_add_f64 v[128:129], v[112:113], -v[32:33]
	v_add_f64 v[108:109], v[120:121], -v[34:35]
	v_mul_f64 v[60:61], v[18:19], v[81:82]
	v_mul_f64 v[18:19], v[79:80], v[18:19]
	;; [unrolled: 1-line block ×5, first 2 shown]
	v_fma_f64 v[48:49], v[4:5], v[48:49], v[38:39]
	v_fma_f64 v[56:57], v[4:5], v[50:51], -v[6:7]
	v_fma_f64 v[38:39], v[52:53], v[96:97], v[124:125]
	v_fma_f64 v[106:107], v[28:29], v[106:107], -v[30:31]
	v_fma_f64 v[52:53], v[52:53], v[98:99], -v[126:127]
	v_add_f64 v[124:125], v[104:105], -v[36:37]
	v_add_f64 v[100:101], v[120:121], v[34:35]
	v_add_f64 v[92:93], v[116:117], -v[40:41]
	v_add_f64 v[96:97], v[112:113], v[32:33]
	v_mul_f64 v[4:5], v[128:129], s[16:17]
	v_mul_f64 v[6:7], v[108:109], s[16:17]
	v_fma_f64 v[60:61], v[16:17], v[79:80], v[60:61]
	v_fma_f64 v[66:67], v[16:17], v[81:82], -v[18:19]
	v_fma_f64 v[50:51], v[12:13], v[89:90], -v[14:15]
	v_fma_f64 v[80:81], v[20:21], v[83:84], v[118:119]
	v_fma_f64 v[90:91], v[20:21], v[85:86], -v[22:23]
	v_add_f64 v[122:123], v[94:95], -v[38:39]
	v_add_f64 v[86:87], v[116:117], v[40:41]
	v_add_f64 v[82:83], v[106:107], -v[52:53]
	v_add_f64 v[88:89], v[104:105], v[36:37]
	v_mul_f64 v[8:9], v[124:125], s[14:15]
	v_fma_f64 v[10:11], v[100:101], s[10:11], v[4:5]
	v_mul_f64 v[12:13], v[92:93], s[14:15]
	v_fma_f64 v[14:15], v[96:97], s[10:11], -v[6:7]
	v_add_f64 v[114:115], v[80:81], -v[42:43]
	v_add_f64 v[68:69], v[106:107], v[52:53]
	v_add_f64 v[74:75], v[94:95], v[38:39]
	v_add_f64 v[84:85], v[90:91], -v[46:47]
	v_mul_f64 v[16:17], v[122:123], s[6:7]
	v_fma_f64 v[18:19], v[86:87], s[8:9], v[8:9]
	v_add_f64 v[10:11], v[2:3], v[10:11]
	v_mul_f64 v[20:21], v[82:83], s[6:7]
	v_fma_f64 v[22:23], v[88:89], s[8:9], -v[12:13]
	v_add_f64 v[14:15], v[0:1], v[14:15]
	v_add_f64 v[102:103], v[60:61], -v[44:45]
	v_add_f64 v[64:65], v[90:91], v[46:47]
	v_add_f64 v[70:71], v[80:81], v[42:43]
	v_mul_f64 v[24:25], v[114:115], s[22:23]
	v_fma_f64 v[26:27], v[68:69], s[4:5], v[16:17]
	v_add_f64 v[10:11], v[18:19], v[10:11]
	v_add_f64 v[98:99], v[66:67], -v[50:51]
	v_mul_f64 v[18:19], v[84:85], s[22:23]
	v_fma_f64 v[28:29], v[74:75], s[4:5], -v[20:21]
	v_add_f64 v[14:15], v[22:23], v[14:15]
	v_add_f64 v[62:63], v[66:67], v[50:51]
	v_add_f64 v[76:77], v[60:61], v[44:45]
	v_mul_f64 v[22:23], v[102:103], s[0:1]
	v_fma_f64 v[30:31], v[64:65], s[20:21], v[24:25]
	v_add_f64 v[10:11], v[26:27], v[10:11]
	v_add_f64 v[118:119], v[54:55], -v[48:49]
	v_mul_f64 v[26:27], v[98:99], s[0:1]
	v_fma_f64 v[131:132], v[70:71], s[20:21], -v[18:19]
	v_add_f64 v[14:15], v[28:29], v[14:15]
	v_add_f64 v[126:127], v[58:59], -v[56:57]
	v_fma_f64 v[4:5], v[100:101], s[10:11], -v[4:5]
	v_add_f64 v[78:79], v[58:59], v[56:57]
	v_fma_f64 v[28:29], v[62:63], s[18:19], v[22:23]
	v_add_f64 v[10:11], v[30:31], v[10:11]
	v_add_f64 v[110:111], v[54:55], v[48:49]
	v_fma_f64 v[30:31], v[76:77], s[18:19], -v[26:27]
	v_fma_f64 v[6:7], v[96:97], s[10:11], v[6:7]
	v_add_f64 v[14:15], v[131:132], v[14:15]
	v_mul_f64 v[131:132], v[118:119], s[28:29]
	v_mul_f64 v[133:134], v[126:127], s[28:29]
	v_fma_f64 v[8:9], v[86:87], s[8:9], -v[8:9]
	v_add_f64 v[4:5], v[2:3], v[4:5]
	v_add_f64 v[10:11], v[28:29], v[10:11]
	v_fma_f64 v[12:13], v[88:89], s[8:9], v[12:13]
	v_add_f64 v[6:7], v[0:1], v[6:7]
	v_add_f64 v[14:15], v[30:31], v[14:15]
	v_fma_f64 v[28:29], v[78:79], s[24:25], v[131:132]
	v_mul_f64 v[30:31], v[128:129], s[6:7]
	v_fma_f64 v[135:136], v[110:111], s[24:25], -v[133:134]
	v_add_f64 v[8:9], v[8:9], v[4:5]
	v_fma_f64 v[16:17], v[68:69], s[4:5], -v[16:17]
	v_fma_f64 v[20:21], v[74:75], s[4:5], v[20:21]
	v_add_f64 v[12:13], v[12:13], v[6:7]
	v_fma_f64 v[18:19], v[70:71], s[20:21], v[18:19]
	v_add_f64 v[6:7], v[28:29], v[10:11]
	v_fma_f64 v[10:11], v[100:101], s[4:5], v[30:31]
	v_mul_f64 v[28:29], v[108:109], s[6:7]
	v_add_f64 v[4:5], v[135:136], v[14:15]
	v_mul_f64 v[14:15], v[124:125], s[28:29]
	v_add_f64 v[8:9], v[16:17], v[8:9]
	v_fma_f64 v[16:17], v[64:65], s[20:21], -v[24:25]
	v_add_f64 v[12:13], v[20:21], v[12:13]
	v_mul_f64 v[24:25], v[92:93], s[28:29]
	v_add_f64 v[10:11], v[2:3], v[10:11]
	v_fma_f64 v[20:21], v[96:97], s[4:5], -v[28:29]
	v_mul_f64 v[137:138], v[122:123], s[26:27]
	v_fma_f64 v[135:136], v[86:87], s[24:25], v[14:15]
	v_fma_f64 v[22:23], v[62:63], s[18:19], -v[22:23]
	v_add_f64 v[8:9], v[16:17], v[8:9]
	v_add_f64 v[12:13], v[18:19], v[12:13]
	v_fma_f64 v[18:19], v[88:89], s[24:25], -v[24:25]
	v_mul_f64 v[139:140], v[114:115], s[36:37]
	v_add_f64 v[16:17], v[0:1], v[20:21]
	v_mul_f64 v[20:21], v[82:83], s[26:27]
	v_add_f64 v[10:11], v[135:136], v[10:11]
	v_fma_f64 v[135:136], v[68:69], s[20:21], v[137:138]
	v_add_f64 v[8:9], v[22:23], v[8:9]
	v_fma_f64 v[22:23], v[76:77], s[18:19], v[26:27]
	v_mul_f64 v[141:142], v[84:85], s[36:37]
	v_fma_f64 v[26:27], v[78:79], s[24:25], -v[131:132]
	v_add_f64 v[16:17], v[18:19], v[16:17]
	v_fma_f64 v[18:19], v[74:75], s[20:21], -v[20:21]
	v_fma_f64 v[131:132], v[64:65], s[10:11], v[139:140]
	v_add_f64 v[10:11], v[135:136], v[10:11]
	v_mul_f64 v[135:136], v[102:103], s[14:15]
	v_add_f64 v[12:13], v[22:23], v[12:13]
	v_fma_f64 v[22:23], v[100:101], s[4:5], -v[30:31]
	v_mul_f64 v[143:144], v[98:99], s[14:15]
	v_fma_f64 v[133:134], v[110:111], s[24:25], v[133:134]
	v_add_f64 v[16:17], v[18:19], v[16:17]
	v_fma_f64 v[18:19], v[70:71], s[10:11], -v[141:142]
	v_add_f64 v[30:31], v[131:132], v[10:11]
	v_fma_f64 v[131:132], v[62:63], s[8:9], v[135:136]
	v_fma_f64 v[14:15], v[86:87], s[24:25], -v[14:15]
	v_add_f64 v[22:23], v[2:3], v[22:23]
	v_fma_f64 v[28:29], v[96:97], s[4:5], v[28:29]
	v_add_f64 v[10:11], v[26:27], v[8:9]
	v_mul_f64 v[26:27], v[118:119], s[0:1]
	v_add_f64 v[16:17], v[18:19], v[16:17]
	v_fma_f64 v[18:19], v[76:77], s[8:9], -v[143:144]
	v_add_f64 v[8:9], v[133:134], v[12:13]
	v_add_f64 v[12:13], v[131:132], v[30:31]
	v_mul_f64 v[30:31], v[126:127], s[0:1]
	v_mul_f64 v[131:132], v[128:129], s[0:1]
	v_add_f64 v[14:15], v[14:15], v[22:23]
	v_fma_f64 v[22:23], v[68:69], s[20:21], -v[137:138]
	v_fma_f64 v[24:25], v[88:89], s[24:25], v[24:25]
	v_add_f64 v[28:29], v[0:1], v[28:29]
	v_add_f64 v[16:17], v[18:19], v[16:17]
	v_fma_f64 v[18:19], v[78:79], s[18:19], v[26:27]
	v_fma_f64 v[133:134], v[110:111], s[18:19], -v[30:31]
	v_fma_f64 v[137:138], v[100:101], s[18:19], v[131:132]
	v_mul_f64 v[145:146], v[124:125], s[34:35]
	v_add_f64 v[22:23], v[22:23], v[14:15]
	v_fma_f64 v[139:140], v[64:65], s[10:11], -v[139:140]
	v_add_f64 v[24:25], v[24:25], v[28:29]
	v_fma_f64 v[20:21], v[74:75], s[20:21], v[20:21]
	v_mul_f64 v[28:29], v[108:109], s[0:1]
	v_add_f64 v[14:15], v[18:19], v[12:13]
	v_add_f64 v[18:19], v[2:3], v[137:138]
	v_fma_f64 v[137:138], v[86:87], s[4:5], v[145:146]
	v_mul_f64 v[147:148], v[122:123], s[14:15]
	v_add_f64 v[12:13], v[133:134], v[16:17]
	v_add_f64 v[16:17], v[139:140], v[22:23]
	;; [unrolled: 1-line block ×3, first 2 shown]
	v_fma_f64 v[22:23], v[96:97], s[18:19], -v[28:29]
	v_mul_f64 v[24:25], v[92:93], s[34:35]
	v_fma_f64 v[133:134], v[70:71], s[10:11], v[141:142]
	v_add_f64 v[18:19], v[137:138], v[18:19]
	v_fma_f64 v[137:138], v[68:69], s[8:9], v[147:148]
	v_mul_f64 v[139:140], v[114:115], s[30:31]
	v_mul_f64 v[149:150], v[82:83], s[14:15]
	v_fma_f64 v[135:136], v[62:63], s[8:9], -v[135:136]
	v_add_f64 v[22:23], v[0:1], v[22:23]
	v_fma_f64 v[141:142], v[88:89], s[4:5], -v[24:25]
	v_add_f64 v[20:21], v[133:134], v[20:21]
	v_fma_f64 v[133:134], v[76:77], s[8:9], v[143:144]
	v_add_f64 v[18:19], v[137:138], v[18:19]
	v_fma_f64 v[137:138], v[64:65], s[24:25], v[139:140]
	v_mul_f64 v[143:144], v[102:103], s[36:37]
	v_mul_f64 v[151:152], v[84:85], s[30:31]
	v_add_f64 v[16:17], v[135:136], v[16:17]
	v_add_f64 v[22:23], v[141:142], v[22:23]
	v_fma_f64 v[141:142], v[74:75], s[8:9], -v[149:150]
	v_fma_f64 v[26:27], v[78:79], s[18:19], -v[26:27]
	;; [unrolled: 1-line block ×3, first 2 shown]
	v_add_f64 v[20:21], v[133:134], v[20:21]
	v_add_f64 v[18:19], v[137:138], v[18:19]
	v_fma_f64 v[133:134], v[62:63], s[10:11], v[143:144]
	v_fma_f64 v[137:138], v[70:71], s[24:25], -v[151:152]
	v_mul_f64 v[153:154], v[118:119], s[22:23]
	v_add_f64 v[135:136], v[141:142], v[22:23]
	v_mul_f64 v[141:142], v[98:99], s[36:37]
	v_add_f64 v[22:23], v[26:27], v[16:17]
	v_fma_f64 v[16:17], v[86:87], s[4:5], -v[145:146]
	v_add_f64 v[26:27], v[2:3], v[131:132]
	v_fma_f64 v[28:29], v[96:97], s[18:19], v[28:29]
	v_fma_f64 v[30:31], v[110:111], s[18:19], v[30:31]
	v_add_f64 v[18:19], v[133:134], v[18:19]
	v_add_f64 v[131:132], v[137:138], v[135:136]
	v_fma_f64 v[133:134], v[76:77], s[10:11], -v[141:142]
	v_mul_f64 v[137:138], v[128:129], s[30:31]
	v_fma_f64 v[135:136], v[78:79], s[20:21], v[153:154]
	v_add_f64 v[16:17], v[16:17], v[26:27]
	v_fma_f64 v[26:27], v[68:69], s[8:9], -v[147:148]
	v_fma_f64 v[24:25], v[88:89], s[4:5], v[24:25]
	v_add_f64 v[28:29], v[0:1], v[28:29]
	v_add_f64 v[20:21], v[30:31], v[20:21]
	;; [unrolled: 1-line block ×3, first 2 shown]
	v_fma_f64 v[131:132], v[100:101], s[24:25], v[137:138]
	v_mul_f64 v[133:134], v[124:125], s[16:17]
	v_add_f64 v[18:19], v[135:136], v[18:19]
	v_add_f64 v[16:17], v[26:27], v[16:17]
	v_fma_f64 v[26:27], v[64:65], s[24:25], -v[139:140]
	v_mul_f64 v[139:140], v[108:109], s[30:31]
	v_mul_f64 v[135:136], v[126:127], s[22:23]
	v_add_f64 v[24:25], v[24:25], v[28:29]
	v_fma_f64 v[28:29], v[74:75], s[8:9], v[149:150]
	s_mov_b32 s23, 0x3fedeba7
	s_mov_b32 s22, s0
	v_add_f64 v[131:132], v[2:3], v[131:132]
	v_fma_f64 v[145:146], v[86:87], s[10:11], v[133:134]
	v_mul_f64 v[147:148], v[122:123], s[22:23]
	v_fma_f64 v[155:156], v[96:97], s[24:25], -v[139:140]
	v_mul_f64 v[157:158], v[92:93], s[16:17]
	v_add_f64 v[26:27], v[26:27], v[16:17]
	v_add_f64 v[16:17], v[28:29], v[24:25]
	v_fma_f64 v[24:25], v[70:71], s[24:25], v[151:152]
	v_fma_f64 v[149:150], v[110:111], s[20:21], -v[135:136]
	v_add_f64 v[28:29], v[145:146], v[131:132]
	v_fma_f64 v[131:132], v[68:69], s[18:19], v[147:148]
	v_add_f64 v[151:152], v[0:1], v[155:156]
	v_fma_f64 v[155:156], v[88:89], s[10:11], -v[157:158]
	v_mul_f64 v[159:160], v[82:83], s[22:23]
	v_fma_f64 v[143:144], v[62:63], s[10:11], -v[143:144]
	v_mul_f64 v[145:146], v[114:115], s[14:15]
	v_add_f64 v[24:25], v[24:25], v[16:17]
	v_fma_f64 v[141:142], v[76:77], s[10:11], v[141:142]
	v_add_f64 v[16:17], v[149:150], v[30:31]
	v_add_f64 v[28:29], v[131:132], v[28:29]
	;; [unrolled: 1-line block ×3, first 2 shown]
	v_fma_f64 v[149:150], v[74:75], s[18:19], -v[159:160]
	v_add_f64 v[26:27], v[143:144], v[26:27]
	v_mul_f64 v[143:144], v[84:85], s[14:15]
	v_fma_f64 v[30:31], v[64:65], s[8:9], v[145:146]
	v_add_f64 v[24:25], v[141:142], v[24:25]
	v_fma_f64 v[151:152], v[78:79], s[20:21], -v[153:154]
	v_fma_f64 v[135:136], v[110:111], s[20:21], v[135:136]
	v_fma_f64 v[137:138], v[100:101], s[24:25], -v[137:138]
	v_mul_f64 v[141:142], v[102:103], s[26:27]
	v_add_f64 v[131:132], v[149:150], v[131:132]
	v_fma_f64 v[149:150], v[70:71], s[8:9], -v[143:144]
	v_mul_f64 v[155:156], v[98:99], s[26:27]
	v_add_f64 v[153:154], v[30:31], v[28:29]
	v_add_f64 v[30:31], v[151:152], v[26:27]
	;; [unrolled: 1-line block ×3, first 2 shown]
	v_fma_f64 v[24:25], v[86:87], s[10:11], -v[133:134]
	v_add_f64 v[26:27], v[2:3], v[137:138]
	v_fma_f64 v[161:162], v[62:63], s[20:21], v[141:142]
	v_mul_f64 v[151:152], v[118:119], s[6:7]
	v_add_f64 v[131:132], v[149:150], v[131:132]
	v_fma_f64 v[133:134], v[76:77], s[20:21], -v[155:156]
	v_fma_f64 v[137:138], v[96:97], s[24:25], v[139:140]
	v_fma_f64 v[147:148], v[68:69], s[18:19], -v[147:148]
	v_mul_f64 v[149:150], v[126:127], s[6:7]
	v_add_f64 v[24:25], v[24:25], v[26:27]
	v_add_f64 v[135:136], v[161:162], v[153:154]
	v_fma_f64 v[139:140], v[78:79], s[4:5], v[151:152]
	v_mul_f64 v[153:154], v[128:129], s[26:27]
	v_add_f64 v[131:132], v[133:134], v[131:132]
	v_fma_f64 v[133:134], v[88:89], s[10:11], v[157:158]
	v_add_f64 v[137:138], v[0:1], v[137:138]
	v_fma_f64 v[145:146], v[64:65], s[8:9], -v[145:146]
	v_add_f64 v[147:148], v[147:148], v[24:25]
	v_mul_f64 v[161:162], v[108:109], s[26:27]
	v_add_f64 v[26:27], v[139:140], v[135:136]
	v_fma_f64 v[135:136], v[110:111], s[4:5], -v[149:150]
	v_fma_f64 v[139:140], v[100:101], s[20:21], v[153:154]
	v_mul_f64 v[157:158], v[124:125], s[0:1]
	v_add_f64 v[133:134], v[133:134], v[137:138]
	v_fma_f64 v[137:138], v[74:75], s[18:19], v[159:160]
	v_add_f64 v[145:146], v[145:146], v[147:148]
	v_fma_f64 v[147:148], v[96:97], s[20:21], -v[161:162]
	v_mul_f64 v[159:160], v[92:93], s[0:1]
	v_add_f64 v[24:25], v[135:136], v[131:132]
	v_add_f64 v[131:132], v[2:3], v[139:140]
	v_fma_f64 v[135:136], v[86:87], s[18:19], v[157:158]
	v_mul_f64 v[139:140], v[122:123], s[16:17]
	v_add_f64 v[133:134], v[137:138], v[133:134]
	v_fma_f64 v[137:138], v[70:71], s[8:9], v[143:144]
	v_add_f64 v[147:148], v[0:1], v[147:148]
	v_fma_f64 v[163:164], v[88:89], s[18:19], -v[159:160]
	v_mul_f64 v[165:166], v[82:83], s[16:17]
	v_fma_f64 v[141:142], v[62:63], s[20:21], -v[141:142]
	v_add_f64 v[131:132], v[135:136], v[131:132]
	v_fma_f64 v[135:136], v[68:69], s[10:11], v[139:140]
	v_mul_f64 v[143:144], v[114:115], s[34:35]
	v_add_f64 v[133:134], v[137:138], v[133:134]
	v_fma_f64 v[137:138], v[76:77], s[20:21], v[155:156]
	v_add_f64 v[147:148], v[163:164], v[147:148]
	v_fma_f64 v[155:156], v[74:75], s[10:11], -v[165:166]
	v_mul_f64 v[163:164], v[84:85], s[34:35]
	v_add_f64 v[141:142], v[141:142], v[145:146]
	v_add_f64 v[131:132], v[135:136], v[131:132]
	v_fma_f64 v[135:136], v[64:65], s[4:5], v[143:144]
	v_mul_f64 v[145:146], v[102:103], s[28:29]
	v_add_f64 v[137:138], v[137:138], v[133:134]
	v_fma_f64 v[133:134], v[78:79], s[4:5], -v[151:152]
	v_fma_f64 v[151:152], v[100:101], s[20:21], -v[153:154]
	v_add_f64 v[147:148], v[155:156], v[147:148]
	v_fma_f64 v[153:154], v[70:71], s[4:5], -v[163:164]
	v_fma_f64 v[161:162], v[96:97], s[20:21], v[161:162]
	v_add_f64 v[131:132], v[135:136], v[131:132]
	v_fma_f64 v[135:136], v[62:63], s[24:25], v[145:146]
	v_fma_f64 v[157:158], v[86:87], s[18:19], -v[157:158]
	v_add_f64 v[133:134], v[133:134], v[141:142]
	v_add_f64 v[151:152], v[2:3], v[151:152]
	v_mul_f64 v[141:142], v[118:119], s[14:15]
	v_add_f64 v[120:121], v[2:3], v[120:121]
	v_add_f64 v[147:148], v[153:154], v[147:148]
	;; [unrolled: 1-line block ×3, first 2 shown]
	v_mul_f64 v[161:162], v[126:127], s[14:15]
	s_mov_b32 s15, 0xbfddbe06
	v_fma_f64 v[149:150], v[110:111], s[4:5], v[149:150]
	v_add_f64 v[135:136], v[135:136], v[131:132]
	v_fma_f64 v[131:132], v[88:89], s[18:19], v[159:160]
	v_add_f64 v[151:152], v[157:158], v[151:152]
	v_fma_f64 v[139:140], v[68:69], s[10:11], -v[139:140]
	v_fma_f64 v[157:158], v[78:79], s[8:9], v[141:142]
	v_mul_f64 v[128:129], v[128:129], s[14:15]
	v_add_f64 v[112:113], v[112:113], v[0:1]
	v_add_f64 v[116:117], v[116:117], v[120:121]
	v_fma_f64 v[165:166], v[74:75], s[10:11], v[165:166]
	v_add_f64 v[153:154], v[131:132], v[153:154]
	v_add_f64 v[131:132], v[149:150], v[137:138]
	v_add_f64 v[139:140], v[139:140], v[151:152]
	v_fma_f64 v[143:144], v[64:65], s[4:5], -v[143:144]
	v_add_f64 v[137:138], v[157:158], v[135:136]
	v_fma_f64 v[135:136], v[100:101], s[8:9], v[128:129]
	v_mul_f64 v[124:125], v[124:125], s[26:27]
	v_add_f64 v[104:105], v[104:105], v[112:113]
	v_add_f64 v[106:107], v[106:107], v[116:117]
	v_mul_f64 v[155:156], v[98:99], s[28:29]
	v_add_f64 v[149:150], v[165:166], v[153:154]
	v_fma_f64 v[151:152], v[70:71], s[4:5], v[163:164]
	v_add_f64 v[139:140], v[143:144], v[139:140]
	v_fma_f64 v[143:144], v[62:63], s[24:25], -v[145:146]
	v_add_f64 v[145:146], v[2:3], v[135:136]
	v_fma_f64 v[157:158], v[86:87], s[20:21], v[124:125]
	v_mul_f64 v[122:123], v[122:123], s[30:31]
	v_add_f64 v[94:95], v[94:95], v[104:105]
	v_add_f64 v[90:91], v[90:91], v[106:107]
	v_add_f64 v[149:150], v[151:152], v[149:150]
	v_fma_f64 v[151:152], v[76:77], s[24:25], v[155:156]
	v_add_f64 v[120:121], v[143:144], v[139:140]
	v_mul_f64 v[114:115], v[114:115], s[0:1]
	v_add_f64 v[139:140], v[157:158], v[145:146]
	v_fma_f64 v[143:144], v[68:69], s[24:25], v[122:123]
	v_add_f64 v[80:81], v[80:81], v[94:95]
	v_add_f64 v[66:67], v[66:67], v[90:91]
	v_fma_f64 v[112:113], v[78:79], s[8:9], -v[141:142]
	v_add_f64 v[145:146], v[151:152], v[149:150]
	v_fma_f64 v[116:117], v[110:111], s[8:9], v[161:162]
	v_mul_f64 v[108:109], v[108:109], s[14:15]
	v_fma_f64 v[141:142], v[64:65], s[18:19], v[114:115]
	v_add_f64 v[139:140], v[143:144], v[139:140]
	v_mul_f64 v[143:144], v[102:103], s[6:7]
	v_add_f64 v[60:61], v[60:61], v[80:81]
	v_fma_f64 v[100:101], v[100:101], s[8:9], -v[128:129]
	v_add_f64 v[58:59], v[58:59], v[66:67]
	v_add_f64 v[104:105], v[112:113], v[120:121]
	;; [unrolled: 1-line block ×3, first 2 shown]
	v_fma_f64 v[106:107], v[96:97], s[8:9], -v[108:109]
	v_add_f64 v[112:113], v[141:142], v[139:140]
	v_fma_f64 v[116:117], v[62:63], s[4:5], v[143:144]
	v_mul_f64 v[90:91], v[118:119], s[16:17]
	v_mul_f64 v[92:93], v[92:93], s[26:27]
	v_add_f64 v[54:55], v[54:55], v[60:61]
	v_fma_f64 v[94:95], v[96:97], s[8:9], v[108:109]
	v_add_f64 v[100:101], v[2:3], v[100:101]
	v_fma_f64 v[80:81], v[86:87], s[20:21], -v[124:125]
	v_add_f64 v[56:57], v[56:57], v[58:59]
	v_add_f64 v[96:97], v[0:1], v[106:107]
	;; [unrolled: 1-line block ×3, first 2 shown]
	v_fma_f64 v[66:67], v[78:79], s[10:11], v[90:91]
	v_fma_f64 v[86:87], v[88:89], s[20:21], -v[92:93]
	v_mul_f64 v[82:83], v[82:83], s[30:31]
	v_add_f64 v[48:49], v[48:49], v[54:55]
	v_add_f64 v[0:1], v[0:1], v[94:95]
	v_fma_f64 v[88:89], v[88:89], s[20:21], v[92:93]
	v_fma_f64 v[54:55], v[68:69], s[24:25], -v[122:123]
	v_add_f64 v[68:69], v[80:81], v[100:101]
	v_add_f64 v[50:51], v[50:51], v[56:57]
	;; [unrolled: 1-line block ×3, first 2 shown]
	v_mul_f64 v[66:67], v[84:85], s[0:1]
	v_add_f64 v[84:85], v[86:87], v[96:97]
	v_fma_f64 v[86:87], v[74:75], s[24:25], -v[82:83]
	v_add_f64 v[44:45], v[44:45], v[48:49]
	v_fma_f64 v[74:75], v[74:75], s[24:25], v[82:83]
	v_add_f64 v[0:1], v[88:89], v[0:1]
	v_fma_f64 v[48:49], v[64:65], s[18:19], -v[114:115]
	v_add_f64 v[54:55], v[54:55], v[68:69]
	v_add_f64 v[46:47], v[46:47], v[50:51]
	v_mul_f64 v[60:61], v[98:99], s[6:7]
	v_fma_f64 v[56:57], v[70:71], s[18:19], -v[66:67]
	v_add_f64 v[80:81], v[86:87], v[84:85]
	v_add_f64 v[42:43], v[42:43], v[44:45]
	v_fma_f64 v[64:65], v[70:71], s[18:19], v[66:67]
	v_add_f64 v[0:1], v[74:75], v[0:1]
	v_fma_f64 v[44:45], v[62:63], s[4:5], -v[143:144]
	v_add_f64 v[48:49], v[48:49], v[54:55]
	v_add_f64 v[46:47], v[52:53], v[46:47]
	v_fma_f64 v[50:51], v[76:77], s[4:5], -v[60:61]
	v_add_f64 v[56:57], v[56:57], v[80:81]
	v_add_f64 v[38:39], v[38:39], v[42:43]
	v_mul_f64 v[58:59], v[126:127], s[16:17]
	v_fma_f64 v[54:55], v[76:77], s[4:5], v[60:61]
	v_add_f64 v[0:1], v[64:65], v[0:1]
	v_fma_f64 v[42:43], v[78:79], s[10:11], -v[90:91]
	v_add_f64 v[44:45], v[44:45], v[48:49]
	v_add_f64 v[40:41], v[40:41], v[46:47]
	v_mad_u64_u32 v[46:47], s[0:1], s2, v130, 0
	v_add_f64 v[50:51], v[50:51], v[56:57]
	v_add_f64 v[56:57], v[36:37], v[38:39]
	v_fma_f64 v[48:49], v[110:111], s[10:11], v[58:59]
	v_add_f64 v[54:55], v[54:55], v[0:1]
	v_mov_b32_e32 v36, v47
	v_add_f64 v[38:39], v[42:43], v[44:45]
	v_mad_u64_u32 v[42:43], s[0:1], s3, v130, v[36:37]
	v_add_u32_e32 v44, 0x4e, v130
	v_add_f64 v[34:35], v[34:35], v[40:41]
	v_mov_b32_e32 v47, v42
	v_mad_u64_u32 v[42:43], s[0:1], s2, v44, 0
	v_add_f64 v[32:33], v[32:33], v[56:57]
	v_add_f64 v[36:37], v[48:49], v[54:55]
	v_mov_b32_e32 v40, s13
	v_add_co_u32_e32 v48, vcc, s12, v72
	v_addc_co_u32_e32 v49, vcc, v40, v73, vcc
	v_lshlrev_b64 v[40:41], 4, v[46:47]
	v_mad_u64_u32 v[43:44], s[0:1], s3, v44, v[43:44]
	v_add_u32_e32 v46, 0x9c, v130
	v_mad_u64_u32 v[44:45], s[0:1], s2, v46, 0
	v_add_co_u32_e32 v40, vcc, v48, v40
	v_addc_co_u32_e32 v41, vcc, v49, v41, vcc
	global_store_dwordx4 v[40:41], v[32:35], off
	v_fma_f64 v[159:160], v[76:77], s[24:25], -v[155:156]
	v_lshlrev_b64 v[32:33], 4, v[42:43]
	v_mov_b32_e32 v34, v45
	v_mad_u64_u32 v[34:35], s[0:1], s3, v46, v[34:35]
	v_add_co_u32_e32 v32, vcc, v48, v32
	v_addc_co_u32_e32 v33, vcc, v49, v33, vcc
	global_store_dwordx4 v[32:33], v[36:39], off
	v_mov_b32_e32 v45, v34
	v_add_u32_e32 v36, 0xea, v130
	v_mad_u64_u32 v[34:35], s[0:1], s2, v36, 0
	v_add_u32_e32 v38, 0x138, v130
	v_lshlrev_b64 v[32:33], 4, v[44:45]
	v_mad_u64_u32 v[35:36], s[0:1], s3, v36, v[35:36]
	v_mad_u64_u32 v[36:37], s[0:1], s2, v38, 0
	v_add_co_u32_e32 v32, vcc, v48, v32
	v_addc_co_u32_e32 v33, vcc, v49, v33, vcc
	global_store_dwordx4 v[32:33], v[102:105], off
	v_lshlrev_b64 v[32:33], 4, v[34:35]
	v_mov_b32_e32 v34, v37
	v_mad_u64_u32 v[34:35], s[0:1], s3, v38, v[34:35]
	v_add_co_u32_e32 v32, vcc, v48, v32
	v_addc_co_u32_e32 v33, vcc, v49, v33, vcc
	v_mov_b32_e32 v37, v34
	global_store_dwordx4 v[32:33], v[131:134], off
	v_lshlrev_b64 v[32:33], 4, v[36:37]
	v_add_u32_e32 v36, 0x186, v130
	v_mad_u64_u32 v[34:35], s[0:1], s2, v36, 0
	v_add_co_u32_e32 v32, vcc, v48, v32
	v_mad_u64_u32 v[35:36], s[0:1], s3, v36, v[35:36]
	v_addc_co_u32_e32 v33, vcc, v49, v33, vcc
	v_add_u32_e32 v38, 0x1d4, v130
	v_mad_u64_u32 v[36:37], s[0:1], s2, v38, 0
	global_store_dwordx4 v[32:33], v[28:31], off
	v_add_f64 v[147:148], v[159:160], v[147:148]
	v_lshlrev_b64 v[28:29], 4, v[34:35]
	v_mov_b32_e32 v30, v37
	v_add_co_u32_e32 v28, vcc, v48, v28
	v_addc_co_u32_e32 v29, vcc, v49, v29, vcc
	global_store_dwordx4 v[28:29], v[20:23], off
	v_add_u32_e32 v28, 0x222, v130
	v_mad_u64_u32 v[30:31], s[0:1], s3, v38, v[30:31]
	v_mad_u64_u32 v[22:23], s[0:1], s2, v28, 0
	v_mov_b32_e32 v37, v30
	v_lshlrev_b64 v[20:21], 4, v[36:37]
	v_mad_u64_u32 v[28:29], s[0:1], s3, v28, v[23:24]
	v_add_co_u32_e32 v20, vcc, v48, v20
	v_addc_co_u32_e32 v21, vcc, v49, v21, vcc
	v_add_u32_e32 v31, 0x270, v130
	v_mov_b32_e32 v23, v28
	v_mad_u64_u32 v[29:30], s[0:1], s2, v31, 0
	global_store_dwordx4 v[20:21], v[8:11], off
	v_fma_f64 v[153:154], v[110:111], s[8:9], -v[161:162]
	v_lshlrev_b64 v[8:9], 4, v[22:23]
	v_mov_b32_e32 v10, v30
	v_add_co_u32_e32 v8, vcc, v48, v8
	v_addc_co_u32_e32 v9, vcc, v49, v9, vcc
	global_store_dwordx4 v[8:9], v[4:7], off
	v_add_u32_e32 v8, 0x2be, v130
	v_mad_u64_u32 v[10:11], s[0:1], s3, v31, v[10:11]
	v_mad_u64_u32 v[6:7], s[0:1], s2, v8, 0
	v_mov_b32_e32 v30, v10
	v_add_u32_e32 v10, 0x30c, v130
	v_mad_u64_u32 v[7:8], s[0:1], s3, v8, v[7:8]
	v_lshlrev_b64 v[4:5], 4, v[29:30]
	v_mad_u64_u32 v[8:9], s[0:1], s2, v10, 0
	v_add_co_u32_e32 v4, vcc, v48, v4
	v_addc_co_u32_e32 v5, vcc, v49, v5, vcc
	global_store_dwordx4 v[4:5], v[12:15], off
	v_lshlrev_b64 v[4:5], 4, v[6:7]
	v_mov_b32_e32 v6, v9
	v_mad_u64_u32 v[6:7], s[0:1], s3, v10, v[6:7]
	v_add_co_u32_e32 v4, vcc, v48, v4
	v_addc_co_u32_e32 v5, vcc, v49, v5, vcc
	v_mov_b32_e32 v9, v6
	global_store_dwordx4 v[4:5], v[16:19], off
	v_lshlrev_b64 v[4:5], 4, v[8:9]
	v_add_u32_e32 v8, 0x35a, v130
	v_mad_u64_u32 v[6:7], s[0:1], s2, v8, 0
	v_fma_f64 v[52:53], v[110:111], s[10:11], -v[58:59]
	v_add_u32_e32 v10, 0x3a8, v130
	v_mad_u64_u32 v[7:8], s[0:1], s3, v8, v[7:8]
	v_mad_u64_u32 v[8:9], s[0:1], s2, v10, 0
	v_add_f64 v[135:136], v[153:154], v[147:148]
	v_add_co_u32_e32 v4, vcc, v48, v4
	v_addc_co_u32_e32 v5, vcc, v49, v5, vcc
	global_store_dwordx4 v[4:5], v[24:27], off
	v_lshlrev_b64 v[4:5], 4, v[6:7]
	v_mov_b32_e32 v6, v9
	v_mad_u64_u32 v[6:7], s[0:1], s3, v10, v[6:7]
	v_add_f64 v[0:1], v[52:53], v[50:51]
	v_add_co_u32_e32 v4, vcc, v48, v4
	v_addc_co_u32_e32 v5, vcc, v49, v5, vcc
	v_mov_b32_e32 v9, v6
	global_store_dwordx4 v[4:5], v[135:138], off
	v_lshlrev_b64 v[4:5], 4, v[8:9]
	v_add_co_u32_e32 v4, vcc, v48, v4
	v_addc_co_u32_e32 v5, vcc, v49, v5, vcc
	global_store_dwordx4 v[4:5], v[0:3], off
.LBB0_19:
	s_endpgm
	.section	.rodata,"a",@progbits
	.p2align	6, 0x0
	.amdhsa_kernel fft_rtc_back_len1014_factors_13_6_13_wgs_156_tpt_78_dp_ip_CI_sbrr_dirReg
		.amdhsa_group_segment_fixed_size 0
		.amdhsa_private_segment_fixed_size 0
		.amdhsa_kernarg_size 88
		.amdhsa_user_sgpr_count 6
		.amdhsa_user_sgpr_private_segment_buffer 1
		.amdhsa_user_sgpr_dispatch_ptr 0
		.amdhsa_user_sgpr_queue_ptr 0
		.amdhsa_user_sgpr_kernarg_segment_ptr 1
		.amdhsa_user_sgpr_dispatch_id 0
		.amdhsa_user_sgpr_flat_scratch_init 0
		.amdhsa_user_sgpr_private_segment_size 0
		.amdhsa_uses_dynamic_stack 0
		.amdhsa_system_sgpr_private_segment_wavefront_offset 0
		.amdhsa_system_sgpr_workgroup_id_x 1
		.amdhsa_system_sgpr_workgroup_id_y 0
		.amdhsa_system_sgpr_workgroup_id_z 0
		.amdhsa_system_sgpr_workgroup_info 0
		.amdhsa_system_vgpr_workitem_id 0
		.amdhsa_next_free_vgpr 167
		.amdhsa_next_free_sgpr 38
		.amdhsa_reserve_vcc 1
		.amdhsa_reserve_flat_scratch 0
		.amdhsa_float_round_mode_32 0
		.amdhsa_float_round_mode_16_64 0
		.amdhsa_float_denorm_mode_32 3
		.amdhsa_float_denorm_mode_16_64 3
		.amdhsa_dx10_clamp 1
		.amdhsa_ieee_mode 1
		.amdhsa_fp16_overflow 0
		.amdhsa_exception_fp_ieee_invalid_op 0
		.amdhsa_exception_fp_denorm_src 0
		.amdhsa_exception_fp_ieee_div_zero 0
		.amdhsa_exception_fp_ieee_overflow 0
		.amdhsa_exception_fp_ieee_underflow 0
		.amdhsa_exception_fp_ieee_inexact 0
		.amdhsa_exception_int_div_zero 0
	.end_amdhsa_kernel
	.text
.Lfunc_end0:
	.size	fft_rtc_back_len1014_factors_13_6_13_wgs_156_tpt_78_dp_ip_CI_sbrr_dirReg, .Lfunc_end0-fft_rtc_back_len1014_factors_13_6_13_wgs_156_tpt_78_dp_ip_CI_sbrr_dirReg
                                        ; -- End function
	.section	.AMDGPU.csdata,"",@progbits
; Kernel info:
; codeLenInByte = 12908
; NumSgprs: 42
; NumVgprs: 167
; ScratchSize: 0
; MemoryBound: 1
; FloatMode: 240
; IeeeMode: 1
; LDSByteSize: 0 bytes/workgroup (compile time only)
; SGPRBlocks: 5
; VGPRBlocks: 41
; NumSGPRsForWavesPerEU: 42
; NumVGPRsForWavesPerEU: 167
; Occupancy: 1
; WaveLimiterHint : 1
; COMPUTE_PGM_RSRC2:SCRATCH_EN: 0
; COMPUTE_PGM_RSRC2:USER_SGPR: 6
; COMPUTE_PGM_RSRC2:TRAP_HANDLER: 0
; COMPUTE_PGM_RSRC2:TGID_X_EN: 1
; COMPUTE_PGM_RSRC2:TGID_Y_EN: 0
; COMPUTE_PGM_RSRC2:TGID_Z_EN: 0
; COMPUTE_PGM_RSRC2:TIDIG_COMP_CNT: 0
	.type	__hip_cuid_e15388b73c019e9b,@object ; @__hip_cuid_e15388b73c019e9b
	.section	.bss,"aw",@nobits
	.globl	__hip_cuid_e15388b73c019e9b
__hip_cuid_e15388b73c019e9b:
	.byte	0                               ; 0x0
	.size	__hip_cuid_e15388b73c019e9b, 1

	.ident	"AMD clang version 19.0.0git (https://github.com/RadeonOpenCompute/llvm-project roc-6.4.0 25133 c7fe45cf4b819c5991fe208aaa96edf142730f1d)"
	.section	".note.GNU-stack","",@progbits
	.addrsig
	.addrsig_sym __hip_cuid_e15388b73c019e9b
	.amdgpu_metadata
---
amdhsa.kernels:
  - .args:
      - .actual_access:  read_only
        .address_space:  global
        .offset:         0
        .size:           8
        .value_kind:     global_buffer
      - .offset:         8
        .size:           8
        .value_kind:     by_value
      - .actual_access:  read_only
        .address_space:  global
        .offset:         16
        .size:           8
        .value_kind:     global_buffer
      - .actual_access:  read_only
        .address_space:  global
        .offset:         24
        .size:           8
        .value_kind:     global_buffer
      - .offset:         32
        .size:           8
        .value_kind:     by_value
      - .actual_access:  read_only
        .address_space:  global
        .offset:         40
        .size:           8
        .value_kind:     global_buffer
      - .actual_access:  read_only
        .address_space:  global
        .offset:         48
        .size:           8
        .value_kind:     global_buffer
      - .offset:         56
        .size:           4
        .value_kind:     by_value
      - .actual_access:  read_only
        .address_space:  global
        .offset:         64
        .size:           8
        .value_kind:     global_buffer
      - .actual_access:  read_only
        .address_space:  global
        .offset:         72
        .size:           8
        .value_kind:     global_buffer
      - .address_space:  global
        .offset:         80
        .size:           8
        .value_kind:     global_buffer
    .group_segment_fixed_size: 0
    .kernarg_segment_align: 8
    .kernarg_segment_size: 88
    .language:       OpenCL C
    .language_version:
      - 2
      - 0
    .max_flat_workgroup_size: 156
    .name:           fft_rtc_back_len1014_factors_13_6_13_wgs_156_tpt_78_dp_ip_CI_sbrr_dirReg
    .private_segment_fixed_size: 0
    .sgpr_count:     42
    .sgpr_spill_count: 0
    .symbol:         fft_rtc_back_len1014_factors_13_6_13_wgs_156_tpt_78_dp_ip_CI_sbrr_dirReg.kd
    .uniform_work_group_size: 1
    .uses_dynamic_stack: false
    .vgpr_count:     167
    .vgpr_spill_count: 0
    .wavefront_size: 64
amdhsa.target:   amdgcn-amd-amdhsa--gfx906
amdhsa.version:
  - 1
  - 2
...

	.end_amdgpu_metadata
